;; amdgpu-corpus repo=ggml-org/llama.cpp kind=compiled arch=gfx1100 opt=O3
	.text
	.amdgcn_target "amdgcn-amd-amdhsa--gfx1100"
	.amdhsa_code_object_version 6
	.section	.text._ZL11upscale_f32PKfPfiiiiiiiiffff,"axG",@progbits,_ZL11upscale_f32PKfPfiiiiiiiiffff,comdat
	.globl	_ZL11upscale_f32PKfPfiiiiiiiiffff ; -- Begin function _ZL11upscale_f32PKfPfiiiiiiiiffff
	.p2align	8
	.type	_ZL11upscale_f32PKfPfiiiiiiiiffff,@function
_ZL11upscale_f32PKfPfiiiiiiiiffff:      ; @_ZL11upscale_f32PKfPfiiiiiiiiffff
; %bb.0:
	s_clause 0x1
	s_load_b32 s2, s[0:1], 0x4c
	s_load_b256 s[4:11], s[0:1], 0x10
	s_waitcnt lgkmcnt(0)
	s_and_b32 s2, s2, 0xffff
	s_mul_i32 s3, s9, s8
	v_mad_u64_u32 v[1:2], null, s15, s2, v[0:1]
	s_mul_i32 s2, s3, s10
	s_delay_alu instid0(SALU_CYCLE_1)
	s_mul_i32 s12, s2, s11
	s_delay_alu instid0(VALU_DEP_1) | instid1(SALU_CYCLE_1)
	v_cmp_gt_i32_e32 vcc_lo, s12, v1
	s_and_saveexec_b32 s12, vcc_lo
	s_cbranch_execz .LBB0_2
; %bb.1:
	s_abs_i32 s12, s8
	s_abs_i32 s13, s3
	v_cvt_f32_u32_e32 v0, s12
	v_cvt_f32_u32_e32 v2, s13
	s_abs_i32 s14, s2
	s_abs_i32 s16, s9
	v_cvt_f32_u32_e32 v3, s14
	v_rcp_iflag_f32_e32 v0, v0
	v_rcp_iflag_f32_e32 v4, v2
	v_cvt_f32_u32_e32 v9, s16
	s_sub_i32 s9, 0, s12
	v_rcp_iflag_f32_e32 v3, v3
	s_abs_i32 s17, s10
	s_sub_i32 s10, 0, s14
	v_rcp_iflag_f32_e32 v9, v9
	v_sub_nc_u32_e32 v5, 0, v1
	v_cvt_f32_u32_e32 v10, s17
	v_mul_f32_e32 v0, 0x4f7ffffe, v0
	v_mul_f32_e32 v4, 0x4f7ffffe, v4
	s_abs_i32 s18, s11
	v_max_i32_e32 v5, v1, v5
	v_mul_f32_e32 v3, 0x4f7ffffe, v3
	v_cvt_u32_f32_e32 v0, v0
	v_cvt_f32_u32_e32 v11, s18
	v_mul_f32_e32 v9, 0x4f7ffffe, v9
	v_cvt_u32_f32_e32 v4, v4
	v_cvt_u32_f32_e32 v3, v3
	v_mul_lo_u32 v6, s9, v0
	s_sub_i32 s9, 0, s13
	v_ashrrev_i32_e32 v2, 31, v1
	v_mul_lo_u32 v7, s9, v4
	v_mul_lo_u32 v8, s10, v3
	s_ashr_i32 s2, s2, 31
	s_ashr_i32 s3, s3, 31
	v_cvt_u32_f32_e32 v9, v9
	v_mul_hi_u32 v6, v0, v6
	s_sub_i32 s9, 0, s16
	s_sub_i32 s10, 0, s17
	v_mul_hi_u32 v7, v4, v7
	v_mul_hi_u32 v8, v3, v8
	s_ashr_i32 s15, s8, 31
	s_delay_alu instid0(VALU_DEP_3) | instskip(SKIP_2) | instid1(VALU_DEP_3)
	v_add_nc_u32_e32 v0, v0, v6
	v_rcp_iflag_f32_e32 v6, v10
	v_rcp_iflag_f32_e32 v10, v11
	v_add_nc_u32_e32 v4, v4, v7
	s_delay_alu instid0(VALU_DEP_3)
	v_add_nc_u32_e32 v3, v3, v8
	v_mul_hi_u32 v0, v5, v0
	v_xor_b32_e32 v11, s2, v2
	v_xor_b32_e32 v8, s3, v2
	v_mul_hi_u32 v4, v5, v4
	v_xor_b32_e32 v7, s15, v2
	s_delay_alu instid0(TRANS32_DEP_2)
	v_mul_f32_e32 v6, 0x4f7ffffe, v6
	v_mul_hi_u32 v3, v5, v3
	v_mul_lo_u32 v12, v0, s12
	v_dual_mul_f32 v10, 0x4f7ffffe, v10 :: v_dual_add_nc_u32 v15, 1, v0
	v_mul_lo_u32 v13, v4, s13
	v_add_nc_u32_e32 v16, 1, v4
	v_cvt_u32_f32_e32 v6, v6
	s_delay_alu instid0(VALU_DEP_4) | instskip(SKIP_3) | instid1(VALU_DEP_2)
	v_cvt_u32_f32_e32 v10, v10
	v_mul_lo_u32 v14, v3, s14
	v_sub_nc_u32_e32 v12, v5, v12
	v_sub_nc_u32_e32 v13, v5, v13
	v_cmp_le_u32_e32 vcc_lo, s12, v12
	s_delay_alu instid0(VALU_DEP_4) | instskip(SKIP_1) | instid1(VALU_DEP_4)
	v_sub_nc_u32_e32 v5, v5, v14
	v_subrev_nc_u32_e32 v14, s12, v12
	v_cmp_le_u32_e64 s2, s13, v13
	v_add_nc_u32_e32 v17, 1, v3
	s_delay_alu instid0(VALU_DEP_4) | instskip(NEXT) | instid1(VALU_DEP_4)
	v_cmp_le_u32_e64 s3, s14, v5
	v_cndmask_b32_e32 v12, v12, v14, vcc_lo
	s_delay_alu instid0(VALU_DEP_4)
	v_cndmask_b32_e64 v4, v4, v16, s2
	v_cndmask_b32_e32 v0, v0, v15, vcc_lo
	v_subrev_nc_u32_e32 v15, s13, v13
	v_subrev_nc_u32_e32 v16, s14, v5
	v_cmp_le_u32_e32 vcc_lo, s12, v12
	v_cndmask_b32_e64 v3, v3, v17, s3
	s_delay_alu instid0(VALU_DEP_4)
	v_cndmask_b32_e64 v13, v13, v15, s2
	v_add_nc_u32_e32 v15, 1, v4
	v_add_nc_u32_e32 v14, 1, v0
	v_cndmask_b32_e64 v5, v5, v16, s3
	v_add_nc_u32_e32 v12, 1, v3
	s_sub_i32 s2, 0, s18
	s_delay_alu instid0(VALU_DEP_3)
	v_cndmask_b32_e32 v0, v0, v14, vcc_lo
	v_cmp_le_u32_e32 vcc_lo, s13, v13
	v_mul_lo_u32 v13, s9, v9
	v_cndmask_b32_e32 v4, v4, v15, vcc_lo
	v_cmp_le_u32_e32 vcc_lo, s14, v5
	v_mul_lo_u32 v5, s10, v6
	v_cndmask_b32_e32 v3, v3, v12, vcc_lo
	v_mul_hi_u32 v12, v9, v13
	s_delay_alu instid0(VALU_DEP_3) | instskip(NEXT) | instid1(VALU_DEP_3)
	v_mul_hi_u32 v5, v6, v5
	v_xor_b32_e32 v3, v3, v11
	s_delay_alu instid0(VALU_DEP_3) | instskip(SKIP_1) | instid1(VALU_DEP_3)
	v_add_nc_u32_e32 v9, v9, v12
	v_xor_b32_e32 v0, v0, v7
	v_sub_nc_u32_e32 v3, v3, v11
	v_add_nc_u32_e32 v5, v6, v5
	v_xor_b32_e32 v4, v4, v8
	s_delay_alu instid0(VALU_DEP_4) | instskip(SKIP_2) | instid1(VALU_DEP_4)
	v_sub_nc_u32_e32 v0, v0, v7
	v_mul_lo_u32 v7, s2, v10
	v_sub_nc_u32_e32 v13, 0, v3
	v_sub_nc_u32_e32 v4, v4, v8
	s_delay_alu instid0(VALU_DEP_4) | instskip(NEXT) | instid1(VALU_DEP_3)
	v_sub_nc_u32_e32 v8, 0, v0
	v_max_i32_e32 v6, v3, v13
	s_delay_alu instid0(VALU_DEP_3) | instskip(SKIP_1) | instid1(VALU_DEP_4)
	v_sub_nc_u32_e32 v11, 0, v4
	v_mul_hi_u32 v7, v10, v7
	v_max_i32_e32 v8, v0, v8
	v_ashrrev_i32_e32 v3, 31, v3
	s_delay_alu instid0(VALU_DEP_4) | instskip(SKIP_1) | instid1(VALU_DEP_4)
	v_max_i32_e32 v11, v4, v11
	v_ashrrev_i32_e32 v4, 31, v4
	v_mul_hi_u32 v9, v8, v9
	v_add_nc_u32_e32 v7, v10, v7
	s_delay_alu instid0(VALU_DEP_4)
	v_mul_hi_u32 v5, v11, v5
	v_mul_lo_u32 v10, v0, s8
	s_clause 0x1
	s_load_b128 s[12:15], s[0:1], 0x30
	s_load_b128 s[8:11], s[0:1], 0x0
	v_ashrrev_i32_e32 v0, 31, v0
	v_mul_hi_u32 v7, v6, v7
	v_mul_lo_u32 v9, v9, s16
	v_mul_lo_u32 v5, v5, s17
	s_delay_alu instid0(VALU_DEP_3) | instskip(NEXT) | instid1(VALU_DEP_3)
	v_mul_lo_u32 v7, v7, s18
	v_sub_nc_u32_e32 v8, v8, v9
	v_sub_nc_u32_e32 v9, v1, v10
	s_delay_alu instid0(VALU_DEP_4) | instskip(NEXT) | instid1(VALU_DEP_3)
	v_sub_nc_u32_e32 v5, v11, v5
	v_cmp_le_u32_e32 vcc_lo, s16, v8
	s_delay_alu instid0(VALU_DEP_3) | instskip(SKIP_3) | instid1(VALU_DEP_3)
	v_cvt_f32_i32_e32 v9, v9
	v_sub_nc_u32_e32 v6, v6, v7
	v_subrev_nc_u32_e32 v7, s16, v8
	v_subrev_nc_u32_e32 v10, s17, v5
	;; [unrolled: 1-line block ×3, first 2 shown]
	s_delay_alu instid0(VALU_DEP_3) | instskip(SKIP_1) | instid1(VALU_DEP_2)
	v_cndmask_b32_e32 v7, v8, v7, vcc_lo
	v_cmp_le_u32_e32 vcc_lo, s17, v5
	v_subrev_nc_u32_e32 v8, s16, v7
	v_cndmask_b32_e32 v5, v5, v10, vcc_lo
	v_cmp_le_u32_e32 vcc_lo, s18, v6
	s_delay_alu instid0(VALU_DEP_2) | instskip(SKIP_2) | instid1(VALU_DEP_2)
	v_subrev_nc_u32_e32 v10, s17, v5
	v_cndmask_b32_e32 v6, v6, v11, vcc_lo
	v_cmp_le_u32_e32 vcc_lo, s16, v7
	v_subrev_nc_u32_e32 v11, s18, v6
	v_cndmask_b32_e32 v7, v7, v8, vcc_lo
	v_cmp_le_u32_e32 vcc_lo, s17, v5
	s_waitcnt lgkmcnt(0)
	v_div_scale_f32 v8, null, s12, s12, v9
	s_delay_alu instid0(VALU_DEP_3) | instskip(SKIP_2) | instid1(VALU_DEP_4)
	v_xor_b32_e32 v7, v7, v0
	v_cndmask_b32_e32 v5, v5, v10, vcc_lo
	v_cmp_le_u32_e32 vcc_lo, s18, v6
	v_rcp_f32_e32 v10, v8
	s_delay_alu instid0(VALU_DEP_3) | instskip(NEXT) | instid1(VALU_DEP_3)
	v_sub_nc_u32_e32 v0, v7, v0
	v_xor_b32_e32 v5, v5, v4
	s_delay_alu instid0(VALU_DEP_2) | instskip(NEXT) | instid1(VALU_DEP_2)
	v_cvt_f32_i32_e32 v0, v0
	v_sub_nc_u32_e32 v4, v5, v4
	s_waitcnt_depctr 0xfff
	v_fma_f32 v5, -v8, v10, 1.0
	v_div_scale_f32 v16, s0, v0, s13, v0
	v_cvt_f32_i32_e32 v4, v4
	s_delay_alu instid0(VALU_DEP_3) | instskip(NEXT) | instid1(VALU_DEP_2)
	v_fmac_f32_e32 v10, v5, v10
	v_div_scale_f32 v7, null, s14, s14, v4
	v_div_scale_f32 v17, s1, v4, s14, v4
	s_delay_alu instid0(VALU_DEP_2) | instskip(SKIP_4) | instid1(VALU_DEP_3)
	v_rcp_f32_e32 v13, v7
	s_waitcnt_depctr 0xfff
	v_fma_f32 v19, -v7, v13, 1.0
	v_cndmask_b32_e32 v6, v6, v11, vcc_lo
	v_div_scale_f32 v12, vcc_lo, v9, s12, v9
	v_fmac_f32_e32 v13, v19, v13
	s_delay_alu instid0(VALU_DEP_3) | instskip(NEXT) | instid1(VALU_DEP_3)
	v_xor_b32_e32 v6, v6, v3
	v_mul_f32_e32 v15, v12, v10
	s_delay_alu instid0(VALU_DEP_2) | instskip(SKIP_1) | instid1(VALU_DEP_2)
	v_sub_nc_u32_e32 v3, v6, v3
	v_div_scale_f32 v6, null, s13, s13, v0
	v_cvt_f32_i32_e32 v3, v3
	s_delay_alu instid0(VALU_DEP_2) | instskip(NEXT) | instid1(VALU_DEP_1)
	v_rcp_f32_e32 v5, v6
	v_div_scale_f32 v11, null, s15, s15, v3
	v_div_scale_f32 v21, s2, v3, s15, v3
	s_delay_alu instid0(VALU_DEP_2) | instskip(SKIP_3) | instid1(VALU_DEP_2)
	v_rcp_f32_e32 v14, v11
	s_waitcnt_depctr 0xfff
	v_fma_f32 v18, -v6, v5, 1.0
	v_fma_f32 v20, -v11, v14, 1.0
	v_fmac_f32_e32 v5, v18, v5
	v_fma_f32 v18, -v8, v15, v12
	s_delay_alu instid0(VALU_DEP_3) | instskip(NEXT) | instid1(VALU_DEP_3)
	v_fmac_f32_e32 v14, v20, v14
	v_mul_f32_e32 v19, v16, v5
	s_delay_alu instid0(VALU_DEP_3) | instskip(NEXT) | instid1(VALU_DEP_3)
	v_dual_mul_f32 v20, v17, v13 :: v_dual_fmac_f32 v15, v18, v10
	v_mul_f32_e32 v22, v21, v14
	s_delay_alu instid0(VALU_DEP_3) | instskip(NEXT) | instid1(VALU_DEP_3)
	v_fma_f32 v18, -v6, v19, v16
	v_fma_f32 v23, -v7, v20, v17
	s_delay_alu instid0(VALU_DEP_4) | instskip(NEXT) | instid1(VALU_DEP_4)
	v_fma_f32 v8, -v8, v15, v12
	v_fma_f32 v24, -v11, v22, v21
	s_delay_alu instid0(VALU_DEP_4) | instskip(NEXT) | instid1(VALU_DEP_4)
	v_fmac_f32_e32 v19, v18, v5
	v_fmac_f32_e32 v20, v23, v13
	s_delay_alu instid0(VALU_DEP_4) | instskip(SKIP_4) | instid1(VALU_DEP_3)
	v_div_fmas_f32 v8, v8, v10, v15
	s_mov_b32 vcc_lo, s0
	v_fmac_f32_e32 v22, v24, v14
	v_fma_f32 v6, -v6, v19, v16
	v_fma_f32 v7, -v7, v20, v17
	;; [unrolled: 1-line block ×3, first 2 shown]
	s_delay_alu instid0(VALU_DEP_3) | instskip(SKIP_1) | instid1(VALU_DEP_3)
	v_div_fmas_f32 v5, v6, v5, v19
	s_mov_b32 vcc_lo, s1
	v_div_fmas_f32 v6, v7, v13, v20
	s_mov_b32 vcc_lo, s2
	s_delay_alu instid0(VALU_DEP_2) | instskip(SKIP_3) | instid1(VALU_DEP_4)
	v_div_fixup_f32 v0, v5, s13, v0
	v_div_fmas_f32 v7, v10, v14, v22
	v_div_fixup_f32 v5, v8, s12, v9
	v_div_fixup_f32 v4, v6, s14, v4
	v_cvt_i32_f32_e32 v0, v0
	s_delay_alu instid0(VALU_DEP_4) | instskip(NEXT) | instid1(VALU_DEP_4)
	v_div_fixup_f32 v3, v7, s15, v3
	v_cvt_i32_f32_e32 v5, v5
	s_delay_alu instid0(VALU_DEP_4) | instskip(NEXT) | instid1(VALU_DEP_4)
	v_cvt_i32_f32_e32 v4, v4
	v_mul_lo_u32 v0, v0, s5
	s_delay_alu instid0(VALU_DEP_4) | instskip(NEXT) | instid1(VALU_DEP_4)
	v_cvt_i32_f32_e32 v3, v3
	v_mul_lo_u32 v5, v5, s4
	s_delay_alu instid0(VALU_DEP_4) | instskip(NEXT) | instid1(VALU_DEP_3)
	v_mul_lo_u32 v4, v4, s6
	v_mul_lo_u32 v3, v3, s7
	v_ashrrev_i32_e32 v8, 31, v0
	s_delay_alu instid0(VALU_DEP_3) | instskip(NEXT) | instid1(VALU_DEP_3)
	v_ashrrev_i32_e32 v7, 31, v4
	v_ashrrev_i32_e32 v6, 31, v3
	v_add_co_u32 v3, vcc_lo, s8, v3
	s_delay_alu instid0(VALU_DEP_2) | instskip(NEXT) | instid1(VALU_DEP_2)
	v_add_co_ci_u32_e32 v6, vcc_lo, s9, v6, vcc_lo
	v_add_co_u32 v3, vcc_lo, v3, v4
	s_delay_alu instid0(VALU_DEP_2) | instskip(NEXT) | instid1(VALU_DEP_2)
	v_add_co_ci_u32_e32 v4, vcc_lo, v6, v7, vcc_lo
	v_add_co_u32 v0, vcc_lo, v3, v0
	v_ashrrev_i32_e32 v6, 31, v5
	s_delay_alu instid0(VALU_DEP_3) | instskip(NEXT) | instid1(VALU_DEP_3)
	v_add_co_ci_u32_e32 v4, vcc_lo, v4, v8, vcc_lo
	v_add_co_u32 v3, vcc_lo, v0, v5
	v_lshlrev_b64 v[0:1], 2, v[1:2]
	s_delay_alu instid0(VALU_DEP_3)
	v_add_co_ci_u32_e32 v4, vcc_lo, v4, v6, vcc_lo
	global_load_b32 v3, v[3:4], off
	v_add_co_u32 v0, vcc_lo, s10, v0
	v_add_co_ci_u32_e32 v1, vcc_lo, s11, v1, vcc_lo
	s_waitcnt vmcnt(0)
	global_store_b32 v[0:1], v3, off
.LBB0_2:
	s_nop 0
	s_sendmsg sendmsg(MSG_DEALLOC_VGPRS)
	s_endpgm
	.section	.rodata,"a",@progbits
	.p2align	6, 0x0
	.amdhsa_kernel _ZL11upscale_f32PKfPfiiiiiiiiffff
		.amdhsa_group_segment_fixed_size 0
		.amdhsa_private_segment_fixed_size 0
		.amdhsa_kernarg_size 320
		.amdhsa_user_sgpr_count 15
		.amdhsa_user_sgpr_dispatch_ptr 0
		.amdhsa_user_sgpr_queue_ptr 0
		.amdhsa_user_sgpr_kernarg_segment_ptr 1
		.amdhsa_user_sgpr_dispatch_id 0
		.amdhsa_user_sgpr_private_segment_size 0
		.amdhsa_wavefront_size32 1
		.amdhsa_uses_dynamic_stack 0
		.amdhsa_enable_private_segment 0
		.amdhsa_system_sgpr_workgroup_id_x 1
		.amdhsa_system_sgpr_workgroup_id_y 0
		.amdhsa_system_sgpr_workgroup_id_z 0
		.amdhsa_system_sgpr_workgroup_info 0
		.amdhsa_system_vgpr_workitem_id 0
		.amdhsa_next_free_vgpr 25
		.amdhsa_next_free_sgpr 19
		.amdhsa_reserve_vcc 1
		.amdhsa_float_round_mode_32 0
		.amdhsa_float_round_mode_16_64 0
		.amdhsa_float_denorm_mode_32 3
		.amdhsa_float_denorm_mode_16_64 3
		.amdhsa_dx10_clamp 1
		.amdhsa_ieee_mode 1
		.amdhsa_fp16_overflow 0
		.amdhsa_workgroup_processor_mode 1
		.amdhsa_memory_ordered 1
		.amdhsa_forward_progress 0
		.amdhsa_shared_vgpr_count 0
		.amdhsa_exception_fp_ieee_invalid_op 0
		.amdhsa_exception_fp_denorm_src 0
		.amdhsa_exception_fp_ieee_div_zero 0
		.amdhsa_exception_fp_ieee_overflow 0
		.amdhsa_exception_fp_ieee_underflow 0
		.amdhsa_exception_fp_ieee_inexact 0
		.amdhsa_exception_int_div_zero 0
	.end_amdhsa_kernel
	.section	.text._ZL11upscale_f32PKfPfiiiiiiiiffff,"axG",@progbits,_ZL11upscale_f32PKfPfiiiiiiiiffff,comdat
.Lfunc_end0:
	.size	_ZL11upscale_f32PKfPfiiiiiiiiffff, .Lfunc_end0-_ZL11upscale_f32PKfPfiiiiiiiiffff
                                        ; -- End function
	.section	.AMDGPU.csdata,"",@progbits
; Kernel info:
; codeLenInByte = 1508
; NumSgprs: 21
; NumVgprs: 25
; ScratchSize: 0
; MemoryBound: 0
; FloatMode: 240
; IeeeMode: 1
; LDSByteSize: 0 bytes/workgroup (compile time only)
; SGPRBlocks: 2
; VGPRBlocks: 3
; NumSGPRsForWavesPerEU: 21
; NumVGPRsForWavesPerEU: 25
; Occupancy: 16
; WaveLimiterHint : 0
; COMPUTE_PGM_RSRC2:SCRATCH_EN: 0
; COMPUTE_PGM_RSRC2:USER_SGPR: 15
; COMPUTE_PGM_RSRC2:TRAP_HANDLER: 0
; COMPUTE_PGM_RSRC2:TGID_X_EN: 1
; COMPUTE_PGM_RSRC2:TGID_Y_EN: 0
; COMPUTE_PGM_RSRC2:TGID_Z_EN: 0
; COMPUTE_PGM_RSRC2:TIDIG_COMP_CNT: 0
	.section	.text._ZL20upscale_f32_bilinearPKfPfiiiiiiiiiifffff,"axG",@progbits,_ZL20upscale_f32_bilinearPKfPfiiiiiiiiiifffff,comdat
	.globl	_ZL20upscale_f32_bilinearPKfPfiiiiiiiiiifffff ; -- Begin function _ZL20upscale_f32_bilinearPKfPfiiiiiiiiiifffff
	.p2align	8
	.type	_ZL20upscale_f32_bilinearPKfPfiiiiiiiiiifffff,@function
_ZL20upscale_f32_bilinearPKfPfiiiiiiiiiifffff: ; @_ZL20upscale_f32_bilinearPKfPfiiiiiiiiiifffff
; %bb.0:
	s_clause 0x2
	s_load_b32 s2, s[0:1], 0x5c
	s_load_b256 s[4:11], s[0:1], 0x10
	s_load_b128 s[16:19], s[0:1], 0x30
	s_waitcnt lgkmcnt(0)
	s_and_b32 s2, s2, 0xffff
	s_delay_alu instid0(SALU_CYCLE_1) | instskip(SKIP_3) | instid1(SALU_CYCLE_1)
	v_mad_u64_u32 v[1:2], null, s15, s2, v[0:1]
	s_mul_i32 s2, s11, s10
	v_mov_b32_e32 v2, 0
	s_mul_i32 s3, s2, s16
	s_mul_i32 s12, s3, s17
	s_delay_alu instid0(SALU_CYCLE_1)
	s_ashr_i32 s13, s12, 31
	s_delay_alu instid0(VALU_DEP_1) | instid1(SALU_CYCLE_1)
	v_cmp_gt_i64_e32 vcc_lo, s[12:13], v[1:2]
	s_and_saveexec_b32 s12, vcc_lo
	s_cbranch_execz .LBB1_2
; %bb.1:
	s_abs_i32 s12, s10
	s_abs_i32 s13, s2
	v_cvt_f32_u32_e32 v0, s12
	v_cvt_f32_u32_e32 v3, s13
	s_sub_i32 s15, 0, s13
	s_sub_i32 s14, 0, s12
	s_abs_i32 s11, s11
	v_rcp_iflag_f32_e32 v0, v0
	v_rcp_iflag_f32_e32 v3, v3
	v_sub_nc_u32_e32 v4, 0, v1
	v_cvt_f32_u32_e32 v8, s11
	s_ashr_i32 s2, s2, 31
	v_xor_b32_e32 v10, s10, v1
	s_load_b128 s[20:23], s[0:1], 0x40
	v_max_i32_e32 v4, v1, v4
	v_rcp_iflag_f32_e32 v8, v8
	s_delay_alu instid0(VALU_DEP_2) | instskip(NEXT) | instid1(TRANS32_DEP_2)
	v_ashrrev_i32_e32 v10, 31, v10
	v_dual_mul_f32 v0, 0x4f7ffffe, v0 :: v_dual_mul_f32 v3, 0x4f7ffffe, v3
	s_delay_alu instid0(VALU_DEP_1) | instskip(NEXT) | instid1(VALU_DEP_2)
	v_cvt_u32_f32_e32 v0, v0
	v_cvt_u32_f32_e32 v3, v3
	s_delay_alu instid0(VALU_DEP_2) | instskip(NEXT) | instid1(VALU_DEP_2)
	v_mul_lo_u32 v5, s14, v0
	v_mul_lo_u32 v6, s15, v3
	s_abs_i32 s14, s3
	s_abs_i32 s15, s16
	v_cvt_f32_u32_e32 v7, s14
	v_cvt_f32_u32_e32 v9, s15
	s_sub_i32 s17, 0, s14
	s_sub_i32 s16, 0, s11
	v_mul_hi_u32 v5, v0, v5
	v_mul_hi_u32 v6, v3, v6
	v_rcp_iflag_f32_e32 v7, v7
	v_rcp_iflag_f32_e32 v9, v9
	s_delay_alu instid0(VALU_DEP_2) | instskip(NEXT) | instid1(VALU_DEP_2)
	v_add_nc_u32_e32 v0, v0, v5
	v_add_nc_u32_e32 v3, v3, v6
	v_ashrrev_i32_e32 v5, 31, v1
	s_waitcnt_depctr 0xfff
	v_dual_mul_f32 v6, 0x4f7ffffe, v7 :: v_dual_mul_f32 v7, 0x4f7ffffe, v8
	v_mul_hi_u32 v3, v4, v3
	v_mul_hi_u32 v0, v4, v0
	v_mul_f32_e32 v8, 0x4f7ffffe, v9
	v_xor_b32_e32 v13, s2, v5
	v_cvt_u32_f32_e32 v6, v6
	v_cvt_u32_f32_e32 v7, v7
	v_add_nc_u32_e32 v15, 1, v3
	v_mul_lo_u32 v11, v3, s13
	v_mul_lo_u32 v9, v0, s12
	v_cvt_u32_f32_e32 v8, v8
	v_mul_lo_u32 v12, s17, v6
	s_sub_i32 s17, 0, s15
	v_mul_lo_u32 v14, s16, v7
	v_sub_nc_u32_e32 v11, v4, v11
	v_sub_nc_u32_e32 v9, v4, v9
	s_delay_alu instid0(VALU_DEP_4) | instskip(NEXT) | instid1(VALU_DEP_3)
	v_mul_hi_u32 v12, v6, v12
	v_subrev_nc_u32_e32 v18, s13, v11
	v_cmp_le_u32_e32 vcc_lo, s13, v11
	v_add_nc_u32_e32 v16, 1, v0
	v_subrev_nc_u32_e32 v17, s12, v9
	v_cmp_le_u32_e64 s2, s12, v9
	v_cndmask_b32_e32 v3, v3, v15, vcc_lo
	v_cndmask_b32_e32 v11, v11, v18, vcc_lo
	v_mul_lo_u32 v15, s17, v8
	s_delay_alu instid0(VALU_DEP_4)
	v_cndmask_b32_e64 v0, v0, v16, s2
	v_cndmask_b32_e64 v9, v9, v17, s2
	v_add_nc_u32_e32 v16, 1, v3
	v_cmp_le_u32_e32 vcc_lo, s13, v11
	s_ashr_i32 s2, s3, 31
	v_add_nc_u32_e32 v17, 1, v0
	v_xor_b32_e32 v5, s2, v5
	v_mul_hi_u32 v11, v8, v15
	v_cndmask_b32_e32 v3, v3, v16, vcc_lo
	v_cmp_le_u32_e32 vcc_lo, s12, v9
	v_mul_hi_u32 v9, v7, v14
	v_cndmask_b32_e32 v0, v0, v17, vcc_lo
	s_delay_alu instid0(VALU_DEP_4) | instskip(SKIP_1) | instid1(VALU_DEP_4)
	v_xor_b32_e32 v3, v3, v13
	v_add_nc_u32_e32 v8, v8, v11
	v_add_nc_u32_e32 v7, v7, v9
	s_delay_alu instid0(VALU_DEP_4) | instskip(NEXT) | instid1(VALU_DEP_4)
	v_xor_b32_e32 v0, v0, v10
	v_sub_nc_u32_e32 v3, v3, v13
	s_delay_alu instid0(VALU_DEP_2) | instskip(NEXT) | instid1(VALU_DEP_1)
	v_sub_nc_u32_e32 v0, v0, v10
	v_sub_nc_u32_e32 v13, 0, v0
	s_delay_alu instid0(VALU_DEP_1) | instskip(NEXT) | instid1(VALU_DEP_1)
	v_max_i32_e32 v11, v0, v13
	v_mul_hi_u32 v7, v11, v7
	s_delay_alu instid0(VALU_DEP_1) | instskip(NEXT) | instid1(VALU_DEP_1)
	v_mul_lo_u32 v7, v7, s11
	v_sub_nc_u32_e32 v7, v11, v7
	v_add_nc_u32_e32 v6, v6, v12
	v_sub_nc_u32_e32 v12, 0, v3
	s_delay_alu instid0(VALU_DEP_2) | instskip(NEXT) | instid1(VALU_DEP_2)
	v_mul_hi_u32 v6, v4, v6
	v_max_i32_e32 v9, v3, v12
	v_ashrrev_i32_e32 v3, 31, v3
	s_delay_alu instid0(VALU_DEP_2) | instskip(NEXT) | instid1(VALU_DEP_4)
	v_mul_hi_u32 v8, v9, v8
	v_mul_lo_u32 v10, v6, s14
	v_add_nc_u32_e32 v12, 1, v6
	s_delay_alu instid0(VALU_DEP_3) | instskip(NEXT) | instid1(VALU_DEP_3)
	v_mul_lo_u32 v8, v8, s15
	v_sub_nc_u32_e32 v4, v4, v10
	s_delay_alu instid0(VALU_DEP_1) | instskip(SKIP_1) | instid1(VALU_DEP_4)
	v_cmp_le_u32_e32 vcc_lo, s14, v4
	v_subrev_nc_u32_e32 v10, s14, v4
	v_sub_nc_u32_e32 v8, v9, v8
	v_subrev_nc_u32_e32 v9, s11, v7
	v_cndmask_b32_e32 v6, v6, v12, vcc_lo
	s_delay_alu instid0(VALU_DEP_4) | instskip(NEXT) | instid1(VALU_DEP_2)
	v_cndmask_b32_e32 v4, v4, v10, vcc_lo
	v_add_nc_u32_e32 v10, 1, v6
	s_delay_alu instid0(VALU_DEP_2) | instskip(NEXT) | instid1(VALU_DEP_2)
	v_cmp_le_u32_e32 vcc_lo, s14, v4
	v_cndmask_b32_e32 v4, v6, v10, vcc_lo
	v_subrev_nc_u32_e32 v6, s15, v8
	v_cmp_le_u32_e32 vcc_lo, s15, v8
	s_delay_alu instid0(VALU_DEP_3) | instskip(NEXT) | instid1(VALU_DEP_3)
	v_xor_b32_e32 v4, v4, v5
	v_cndmask_b32_e32 v6, v8, v6, vcc_lo
	v_cmp_le_u32_e32 vcc_lo, s11, v7
	s_delay_alu instid0(VALU_DEP_3) | instskip(SKIP_1) | instid1(VALU_DEP_4)
	v_sub_nc_u32_e32 v4, v4, v5
	v_mul_lo_u32 v5, v0, s10
	v_subrev_nc_u32_e32 v8, s15, v6
	v_cndmask_b32_e32 v7, v7, v9, vcc_lo
	v_cmp_le_u32_e32 vcc_lo, s15, v6
	v_cvt_f32_i32_e32 v4, v4
	v_ashrrev_i32_e32 v0, 31, v0
	s_load_b128 s[12:15], s[0:1], 0x0
	v_subrev_nc_u32_e32 v9, s11, v7
	v_cndmask_b32_e32 v6, v6, v8, vcc_lo
	v_cmp_le_u32_e32 vcc_lo, s11, v7
	s_waitcnt lgkmcnt(0)
	v_div_scale_f32 v8, null, s21, s21, v4
	v_sub_nc_u32_e32 v5, v1, v5
	v_xor_b32_e32 v6, v6, v3
	v_cndmask_b32_e32 v7, v7, v9, vcc_lo
	v_div_scale_f32 v14, s0, v4, s21, v4
	s_delay_alu instid0(VALU_DEP_4) | instskip(NEXT) | instid1(VALU_DEP_4)
	v_cvt_f32_u32_e32 v5, v5
	v_sub_nc_u32_e32 v3, v6, v3
	s_delay_alu instid0(VALU_DEP_4) | instskip(SKIP_1) | instid1(VALU_DEP_3)
	v_xor_b32_e32 v7, v7, v0
	v_rcp_f32_e32 v6, v8
	v_add_f32_e32 v5, s22, v5
	s_delay_alu instid0(VALU_DEP_3) | instskip(NEXT) | instid1(VALU_DEP_3)
	v_cvt_f32_i32_e32 v3, v3
	v_sub_nc_u32_e32 v0, v7, v0
	s_delay_alu instid0(VALU_DEP_3) | instskip(NEXT) | instid1(VALU_DEP_2)
	v_div_scale_f32 v9, null, s18, s18, v5
	v_cvt_f32_i32_e32 v0, v0
	s_waitcnt_depctr 0xfff
	v_fma_f32 v10, -v8, v6, 1.0
	v_div_scale_f32 v7, null, s20, s20, v3
	v_rcp_f32_e32 v13, v9
	v_div_scale_f32 v19, vcc_lo, v3, s20, v3
	s_delay_alu instid0(VALU_DEP_3) | instskip(SKIP_3) | instid1(VALU_DEP_3)
	v_fmac_f32_e32 v6, v10, v6
	v_add_f32_e32 v0, s22, v0
	v_rcp_f32_e32 v11, v7
	v_div_scale_f32 v15, s1, v5, s18, v5
	v_mul_f32_e32 v17, v14, v6
	s_delay_alu instid0(VALU_DEP_3) | instskip(NEXT) | instid1(TRANS32_DEP_2)
	v_div_scale_f32 v12, null, s19, s19, v0
	v_fma_f32 v18, -v9, v13, 1.0
	s_delay_alu instid0(VALU_DEP_3) | instskip(NEXT) | instid1(VALU_DEP_3)
	v_fma_f32 v21, -v8, v17, v14
	v_rcp_f32_e32 v10, v12
	s_delay_alu instid0(TRANS32_DEP_2) | instskip(NEXT) | instid1(VALU_DEP_3)
	v_fma_f32 v16, -v7, v11, 1.0
	v_fmac_f32_e32 v13, v18, v13
	v_div_scale_f32 v18, s2, v0, s19, v0
	v_fmac_f32_e32 v17, v21, v6
	s_delay_alu instid0(VALU_DEP_4) | instskip(SKIP_3) | instid1(VALU_DEP_2)
	v_fmac_f32_e32 v11, v16, v11
	s_waitcnt_depctr 0xfff
	v_fma_f32 v16, -v12, v10, 1.0
	v_fma_f32 v8, -v8, v17, v14
	v_fmac_f32_e32 v10, v16, v10
	v_mul_f32_e32 v20, v19, v11
	s_delay_alu instid0(VALU_DEP_2) | instskip(NEXT) | instid1(VALU_DEP_2)
	v_dual_mul_f32 v16, v15, v13 :: v_dual_mul_f32 v23, v18, v10
	v_fma_f32 v22, -v7, v20, v19
	s_delay_alu instid0(VALU_DEP_2) | instskip(NEXT) | instid1(VALU_DEP_3)
	v_fma_f32 v24, -v9, v16, v15
	v_fma_f32 v21, -v12, v23, v18
	s_delay_alu instid0(VALU_DEP_3) | instskip(NEXT) | instid1(VALU_DEP_2)
	v_fmac_f32_e32 v20, v22, v11
	v_dual_fmac_f32 v16, v24, v13 :: v_dual_fmac_f32 v23, v21, v10
	s_delay_alu instid0(VALU_DEP_2) | instskip(NEXT) | instid1(VALU_DEP_2)
	v_fma_f32 v7, -v7, v20, v19
	v_fma_f32 v9, -v9, v16, v15
	s_delay_alu instid0(VALU_DEP_2) | instskip(NEXT) | instid1(VALU_DEP_4)
	v_div_fmas_f32 v7, v7, v11, v20
	v_fma_f32 v11, -v12, v23, v18
	s_mov_b32 vcc_lo, s0
	s_add_i32 s0, s9, -1
	v_div_fmas_f32 v6, v8, v6, v17
	s_mov_b32 vcc_lo, s2
	v_div_fixup_f32 v3, v7, s20, v3
	v_div_fmas_f32 v8, v11, v10, v23
	s_mov_b32 vcc_lo, s1
	v_div_fixup_f32 v4, v6, s21, v4
	v_div_fmas_f32 v9, v9, v13, v16
	s_add_i32 s1, s8, -1
	v_div_fixup_f32 v0, v8, s19, v0
	v_cvt_i32_f32_e32 v7, v3
	v_cvt_i32_f32_e32 v11, v4
	v_div_fixup_f32 v5, v9, s18, v5
	s_delay_alu instid0(VALU_DEP_4) | instskip(NEXT) | instid1(VALU_DEP_4)
	v_subrev_f32_e32 v0, s22, v0
	v_mad_i64_i32 v[3:4], null, v7, s6, 0
	s_delay_alu instid0(VALU_DEP_3) | instskip(NEXT) | instid1(VALU_DEP_3)
	v_subrev_f32_e32 v17, s22, v5
	v_floor_f32_e32 v6, v0
	s_delay_alu instid0(VALU_DEP_2) | instskip(NEXT) | instid1(VALU_DEP_2)
	v_floor_f32_e32 v5, v17
	v_cvt_i32_f32_e32 v8, v6
	s_delay_alu instid0(VALU_DEP_2) | instskip(NEXT) | instid1(VALU_DEP_2)
	v_cvt_i32_f32_e32 v5, v5
	v_add_nc_u32_e32 v7, 1, v8
	v_minmax_i32 v19, v8, s0, 0
	s_delay_alu instid0(VALU_DEP_3) | instskip(SKIP_1) | instid1(VALU_DEP_4)
	v_add_nc_u32_e32 v6, 1, v5
	v_minmax_i32 v18, v5, s1, 0
	v_minmax_i32 v20, v7, s0, 0
	s_delay_alu instid0(VALU_DEP_3) | instskip(NEXT) | instid1(VALU_DEP_3)
	v_minmax_i32 v9, v6, s1, 0
	v_mad_i64_i32 v[5:6], null, v18, s4, s[12:13]
	s_delay_alu instid0(VALU_DEP_2) | instskip(SKIP_1) | instid1(VALU_DEP_3)
	v_mad_i64_i32 v[7:8], null, v9, s4, s[12:13]
	v_mad_i64_i32 v[9:10], null, v11, s7, 0
	;; [unrolled: 1-line block ×4, first 2 shown]
	s_delay_alu instid0(VALU_DEP_4) | instskip(SKIP_1) | instid1(VALU_DEP_4)
	v_mad_i64_i32 v[5:6], null, v19, s5, v[7:8]
	v_mad_i64_i32 v[15:16], null, v20, s5, v[7:8]
	v_add_co_u32 v7, vcc_lo, v11, v3
	v_add_co_ci_u32_e32 v8, vcc_lo, v12, v4, vcc_lo
	v_add_co_u32 v11, vcc_lo, v13, v3
	v_add_co_ci_u32_e32 v12, vcc_lo, v14, v4, vcc_lo
	;; [unrolled: 2-line block ×4, first 2 shown]
	s_delay_alu instid0(VALU_DEP_4) | instskip(NEXT) | instid1(VALU_DEP_4)
	v_add_co_u32 v7, vcc_lo, v13, v9
	v_add_co_ci_u32_e32 v8, vcc_lo, v14, v10, vcc_lo
	v_add_co_u32 v13, vcc_lo, v15, v3
	s_clause 0x1
	global_load_b32 v15, v[5:6], off
	global_load_b32 v7, v[7:8], off
	v_add_co_ci_u32_e32 v14, vcc_lo, v16, v4, vcc_lo
	v_add_co_u32 v3, vcc_lo, v11, v9
	v_add_co_ci_u32_e32 v4, vcc_lo, v12, v10, vcc_lo
	v_add_co_u32 v5, vcc_lo, v13, v9
	s_delay_alu instid0(VALU_DEP_4)
	v_add_co_ci_u32_e32 v6, vcc_lo, v14, v10, vcc_lo
	s_clause 0x1
	global_load_b32 v3, v[3:4], off
	global_load_b32 v4, v[5:6], off
	v_cvt_f32_u32_e32 v5, v19
	v_cvt_f32_u32_e32 v6, v18
	s_delay_alu instid0(VALU_DEP_1) | instskip(NEXT) | instid1(VALU_DEP_1)
	v_dual_sub_f32 v0, v0, v5 :: v_dual_sub_f32 v5, v17, v6
	v_minmax_f32 v6, v0, 1.0, 0
	s_delay_alu instid0(VALU_DEP_2) | instskip(NEXT) | instid1(VALU_DEP_2)
	v_minmax_f32 v0, v5, 1.0, 0
	v_sub_f32_e32 v5, 1.0, v6
	s_waitcnt vmcnt(2)
	s_delay_alu instid0(VALU_DEP_2) | instskip(NEXT) | instid1(VALU_DEP_1)
	v_mul_f32_e32 v7, v7, v0
	v_dual_mul_f32 v7, v7, v5 :: v_dual_sub_f32 v8, 1.0, v0
	s_delay_alu instid0(VALU_DEP_1) | instskip(NEXT) | instid1(VALU_DEP_1)
	v_mul_f32_e32 v9, v15, v8
	v_fmac_f32_e32 v7, v9, v5
	s_waitcnt vmcnt(1)
	v_mul_f32_e32 v3, v3, v8
	s_waitcnt vmcnt(0)
	v_mul_f32_e32 v4, v4, v0
	v_lshlrev_b64 v[0:1], 2, v[1:2]
	s_delay_alu instid0(VALU_DEP_3) | instskip(NEXT) | instid1(VALU_DEP_2)
	v_fmac_f32_e32 v7, v3, v6
	v_add_co_u32 v0, vcc_lo, s14, v0
	s_delay_alu instid0(VALU_DEP_2) | instskip(NEXT) | instid1(VALU_DEP_4)
	v_fmac_f32_e32 v7, v4, v6
	v_add_co_ci_u32_e32 v1, vcc_lo, s15, v1, vcc_lo
	global_store_b32 v[0:1], v7, off
.LBB1_2:
	s_nop 0
	s_sendmsg sendmsg(MSG_DEALLOC_VGPRS)
	s_endpgm
	.section	.rodata,"a",@progbits
	.p2align	6, 0x0
	.amdhsa_kernel _ZL20upscale_f32_bilinearPKfPfiiiiiiiiiifffff
		.amdhsa_group_segment_fixed_size 0
		.amdhsa_private_segment_fixed_size 0
		.amdhsa_kernarg_size 336
		.amdhsa_user_sgpr_count 15
		.amdhsa_user_sgpr_dispatch_ptr 0
		.amdhsa_user_sgpr_queue_ptr 0
		.amdhsa_user_sgpr_kernarg_segment_ptr 1
		.amdhsa_user_sgpr_dispatch_id 0
		.amdhsa_user_sgpr_private_segment_size 0
		.amdhsa_wavefront_size32 1
		.amdhsa_uses_dynamic_stack 0
		.amdhsa_enable_private_segment 0
		.amdhsa_system_sgpr_workgroup_id_x 1
		.amdhsa_system_sgpr_workgroup_id_y 0
		.amdhsa_system_sgpr_workgroup_id_z 0
		.amdhsa_system_sgpr_workgroup_info 0
		.amdhsa_system_vgpr_workitem_id 0
		.amdhsa_next_free_vgpr 25
		.amdhsa_next_free_sgpr 24
		.amdhsa_reserve_vcc 1
		.amdhsa_float_round_mode_32 0
		.amdhsa_float_round_mode_16_64 0
		.amdhsa_float_denorm_mode_32 3
		.amdhsa_float_denorm_mode_16_64 3
		.amdhsa_dx10_clamp 1
		.amdhsa_ieee_mode 1
		.amdhsa_fp16_overflow 0
		.amdhsa_workgroup_processor_mode 1
		.amdhsa_memory_ordered 1
		.amdhsa_forward_progress 0
		.amdhsa_shared_vgpr_count 0
		.amdhsa_exception_fp_ieee_invalid_op 0
		.amdhsa_exception_fp_denorm_src 0
		.amdhsa_exception_fp_ieee_div_zero 0
		.amdhsa_exception_fp_ieee_overflow 0
		.amdhsa_exception_fp_ieee_underflow 0
		.amdhsa_exception_fp_ieee_inexact 0
		.amdhsa_exception_int_div_zero 0
	.end_amdhsa_kernel
	.section	.text._ZL20upscale_f32_bilinearPKfPfiiiiiiiiiifffff,"axG",@progbits,_ZL20upscale_f32_bilinearPKfPfiiiiiiiiiifffff,comdat
.Lfunc_end1:
	.size	_ZL20upscale_f32_bilinearPKfPfiiiiiiiiiifffff, .Lfunc_end1-_ZL20upscale_f32_bilinearPKfPfiiiiiiiiiifffff
                                        ; -- End function
	.section	.AMDGPU.csdata,"",@progbits
; Kernel info:
; codeLenInByte = 1648
; NumSgprs: 26
; NumVgprs: 25
; ScratchSize: 0
; MemoryBound: 0
; FloatMode: 240
; IeeeMode: 1
; LDSByteSize: 0 bytes/workgroup (compile time only)
; SGPRBlocks: 3
; VGPRBlocks: 3
; NumSGPRsForWavesPerEU: 26
; NumVGPRsForWavesPerEU: 25
; Occupancy: 16
; WaveLimiterHint : 0
; COMPUTE_PGM_RSRC2:SCRATCH_EN: 0
; COMPUTE_PGM_RSRC2:USER_SGPR: 15
; COMPUTE_PGM_RSRC2:TRAP_HANDLER: 0
; COMPUTE_PGM_RSRC2:TGID_X_EN: 1
; COMPUTE_PGM_RSRC2:TGID_Y_EN: 0
; COMPUTE_PGM_RSRC2:TGID_Z_EN: 0
; COMPUTE_PGM_RSRC2:TIDIG_COMP_CNT: 0
	.section	.text._ZL30upscale_f32_bilinear_antialiasPKfPfiiiiiiiiiifffff,"axG",@progbits,_ZL30upscale_f32_bilinear_antialiasPKfPfiiiiiiiiiifffff,comdat
	.globl	_ZL30upscale_f32_bilinear_antialiasPKfPfiiiiiiiiiifffff ; -- Begin function _ZL30upscale_f32_bilinear_antialiasPKfPfiiiiiiiiiifffff
	.p2align	8
	.type	_ZL30upscale_f32_bilinear_antialiasPKfPfiiiiiiiiiifffff,@function
_ZL30upscale_f32_bilinear_antialiasPKfPfiiiiiiiiiifffff: ; @_ZL30upscale_f32_bilinear_antialiasPKfPfiiiiiiiiiifffff
; %bb.0:
	s_clause 0x2
	s_load_b32 s2, s[0:1], 0x5c
	s_load_b256 s[4:11], s[0:1], 0x10
	s_load_b128 s[20:23], s[0:1], 0x30
	v_mov_b32_e32 v17, 0
	s_mov_b32 s3, exec_lo
	s_waitcnt lgkmcnt(0)
	s_and_b32 s2, s2, 0xffff
	s_delay_alu instid0(SALU_CYCLE_1) | instskip(SKIP_3) | instid1(SALU_CYCLE_1)
	v_mad_u64_u32 v[1:2], null, s15, s2, v[0:1]
	s_mul_i32 s2, s11, s10
	v_mov_b32_e32 v2, v17
	s_mul_i32 s24, s2, s20
	s_mul_i32 s12, s24, s21
	s_delay_alu instid0(SALU_CYCLE_1)
	s_ashr_i32 s13, s12, 31
	s_delay_alu instid0(VALU_DEP_1) | instid1(SALU_CYCLE_1)
	v_cmpx_gt_i64_e64 s[12:13], v[1:2]
	s_cbranch_execz .LBB2_12
; %bb.1:
	s_abs_i32 s3, s10
	v_sub_nc_u32_e32 v4, 0, v1
	v_cvt_f32_u32_e32 v0, s3
	s_sub_i32 s12, 0, s3
	s_abs_i32 s11, s11
	s_load_b128 s[16:19], s[0:1], 0x40
	v_max_i32_e32 v7, v1, v4
	v_rcp_iflag_f32_e32 v0, v0
	v_cvt_f32_u32_e32 v4, s11
	v_mov_b32_e32 v19, 0
	s_delay_alu instid0(VALU_DEP_2) | instskip(SKIP_2) | instid1(VALU_DEP_1)
	v_rcp_iflag_f32_e32 v4, v4
	s_waitcnt_depctr 0xfff
	v_mul_f32_e32 v0, 0x4f7ffffe, v0
	v_cvt_u32_f32_e32 v0, v0
	v_mul_f32_e32 v4, 0x4f7ffffe, v4
	s_delay_alu instid0(VALU_DEP_2) | instskip(SKIP_1) | instid1(VALU_DEP_2)
	v_mul_lo_u32 v3, s12, v0
	s_load_b128 s[12:15], s[0:1], 0x0
	v_cvt_u32_f32_e32 v4, v4
	s_ashr_i32 s1, s9, 31
	s_delay_alu instid0(VALU_DEP_2) | instskip(NEXT) | instid1(VALU_DEP_1)
	v_mul_hi_u32 v3, v0, v3
	v_add_nc_u32_e32 v0, v0, v3
	s_delay_alu instid0(VALU_DEP_1) | instskip(NEXT) | instid1(VALU_DEP_1)
	v_mul_hi_u32 v0, v7, v0
	v_mul_lo_u32 v3, v0, s3
	v_add_nc_u32_e32 v5, 1, v0
	s_delay_alu instid0(VALU_DEP_2) | instskip(NEXT) | instid1(VALU_DEP_1)
	v_sub_nc_u32_e32 v3, v7, v3
	v_subrev_nc_u32_e32 v6, s3, v3
	v_cmp_le_u32_e32 vcc_lo, s3, v3
	s_delay_alu instid0(VALU_DEP_2) | instskip(SKIP_1) | instid1(VALU_DEP_2)
	v_dual_cndmask_b32 v0, v0, v5 :: v_dual_cndmask_b32 v3, v3, v6
	v_xor_b32_e32 v5, s10, v1
	v_add_nc_u32_e32 v6, 1, v0
	s_delay_alu instid0(VALU_DEP_3) | instskip(NEXT) | instid1(VALU_DEP_3)
	v_cmp_le_u32_e32 vcc_lo, s3, v3
	v_ashrrev_i32_e32 v5, 31, v5
	s_sub_i32 s3, 0, s11
	s_delay_alu instid0(SALU_CYCLE_1) | instskip(SKIP_2) | instid1(VALU_DEP_1)
	v_mul_lo_u32 v3, s3, v4
	v_cndmask_b32_e32 v0, v0, v6, vcc_lo
	s_mov_b32 s3, exec_lo
	v_xor_b32_e32 v0, v0, v5
	s_delay_alu instid0(VALU_DEP_1) | instskip(NEXT) | instid1(VALU_DEP_4)
	v_sub_nc_u32_e32 v8, v0, v5
	v_mul_hi_u32 v0, v4, v3
	s_delay_alu instid0(VALU_DEP_2) | instskip(NEXT) | instid1(VALU_DEP_2)
	v_sub_nc_u32_e32 v3, 0, v8
	v_add_nc_u32_e32 v0, v4, v0
	s_delay_alu instid0(VALU_DEP_2) | instskip(SKIP_1) | instid1(VALU_DEP_2)
	v_max_i32_e32 v3, v8, v3
	v_ashrrev_i32_e32 v4, 31, v8
	v_mul_hi_u32 v0, v3, v0
	s_delay_alu instid0(VALU_DEP_1) | instskip(NEXT) | instid1(VALU_DEP_1)
	v_mul_lo_u32 v0, v0, s11
	v_sub_nc_u32_e32 v0, v3, v0
	s_delay_alu instid0(VALU_DEP_1) | instskip(SKIP_1) | instid1(VALU_DEP_2)
	v_subrev_nc_u32_e32 v3, s11, v0
	v_cmp_le_u32_e32 vcc_lo, s11, v0
	v_cndmask_b32_e32 v0, v0, v3, vcc_lo
	s_delay_alu instid0(VALU_DEP_1) | instskip(SKIP_2) | instid1(VALU_DEP_2)
	v_subrev_nc_u32_e32 v3, s11, v0
	v_cmp_le_u32_e32 vcc_lo, s11, v0
	s_mov_b32 s11, 0
	v_cndmask_b32_e32 v0, v0, v3, vcc_lo
	s_delay_alu instid0(VALU_DEP_1) | instskip(NEXT) | instid1(VALU_DEP_1)
	v_xor_b32_e32 v0, v0, v4
	v_sub_nc_u32_e32 v0, v0, v4
	v_div_scale_f32 v4, null, s23, s23, 1.0
	s_delay_alu instid0(VALU_DEP_2) | instskip(NEXT) | instid1(VALU_DEP_2)
	v_cvt_f32_i32_e32 v0, v0
	v_rcp_f32_e32 v6, v4
	s_waitcnt lgkmcnt(0)
	s_delay_alu instid0(VALU_DEP_1) | instskip(NEXT) | instid1(VALU_DEP_1)
	v_add_f32_e32 v0, s18, v0
	v_div_scale_f32 v3, null, s23, s23, v0
	s_waitcnt_depctr 0xfff
	v_fma_f32 v10, -v4, v6, 1.0
	v_div_scale_f32 v11, vcc_lo, v0, s23, v0
	v_rcp_f32_e32 v5, v3
	s_delay_alu instid0(VALU_DEP_2) | instskip(SKIP_2) | instid1(VALU_DEP_1)
	v_fmac_f32_e32 v6, v10, v6
	s_waitcnt_depctr 0xfff
	v_fma_f32 v9, -v3, v5, 1.0
	v_fmac_f32_e32 v5, v9, v5
	v_div_scale_f32 v9, s0, 1.0, s23, 1.0
	s_delay_alu instid0(VALU_DEP_2) | instskip(NEXT) | instid1(VALU_DEP_2)
	v_mul_f32_e32 v10, v11, v5
	v_mul_f32_e32 v12, v9, v6
	s_delay_alu instid0(VALU_DEP_2) | instskip(NEXT) | instid1(VALU_DEP_2)
	v_fma_f32 v13, -v3, v10, v11
	v_fma_f32 v14, -v4, v12, v9
	s_delay_alu instid0(VALU_DEP_2) | instskip(NEXT) | instid1(VALU_DEP_2)
	v_fmac_f32_e32 v10, v13, v5
	v_fmac_f32_e32 v12, v14, v6
	s_delay_alu instid0(VALU_DEP_2) | instskip(NEXT) | instid1(VALU_DEP_2)
	v_fma_f32 v3, -v3, v10, v11
	v_fma_f32 v4, -v4, v12, v9
	s_delay_alu instid0(VALU_DEP_2) | instskip(SKIP_2) | instid1(VALU_DEP_2)
	v_div_fmas_f32 v3, v3, v5, v10
	s_mov_b32 vcc_lo, s0
	s_mov_b32 s0, s9
	v_div_fmas_f32 v4, v4, v6, v12
	s_delay_alu instid0(VALU_DEP_2) | instskip(NEXT) | instid1(VALU_DEP_2)
	v_div_fixup_f32 v0, v3, s23, v0
	v_div_fixup_f32 v4, v4, s23, 1.0
	s_delay_alu instid0(VALU_DEP_1) | instskip(NEXT) | instid1(VALU_DEP_1)
	v_max_f32_e32 v9, 1.0, v4
	v_dual_sub_f32 v3, v0, v9 :: v_dual_add_f32 v4, v9, v0
	s_delay_alu instid0(VALU_DEP_1) | instskip(NEXT) | instid1(VALU_DEP_1)
	v_dual_add_f32 v3, s18, v3 :: v_dual_add_f32 v4, s18, v4
	v_trunc_f32_e32 v3, v3
	s_delay_alu instid0(VALU_DEP_2) | instskip(NEXT) | instid1(VALU_DEP_2)
	v_trunc_f32_e32 v4, v4
	v_mul_f32_e64 v5, 0x2f800000, |v3|
	s_delay_alu instid0(VALU_DEP_2) | instskip(SKIP_2) | instid1(VALU_DEP_4)
	v_mul_f32_e64 v6, 0x2f800000, |v4|
	v_ashrrev_i32_e32 v11, 31, v3
	v_ashrrev_i32_e32 v12, 31, v4
	v_floor_f32_e32 v5, v5
	s_delay_alu instid0(VALU_DEP_4) | instskip(NEXT) | instid1(VALU_DEP_2)
	v_floor_f32_e32 v6, v6
	v_fma_f32 v10, 0xcf800000, v5, |v3|
	s_delay_alu instid0(VALU_DEP_2) | instskip(SKIP_2) | instid1(VALU_DEP_4)
	v_fma_f32 v3, 0xcf800000, v6, |v4|
	v_cvt_u32_f32_e32 v5, v5
	v_cvt_u32_f32_e32 v6, v6
	;; [unrolled: 1-line block ×3, first 2 shown]
	s_delay_alu instid0(VALU_DEP_4) | instskip(NEXT) | instid1(VALU_DEP_4)
	v_cvt_u32_f32_e32 v3, v3
	v_xor_b32_e32 v5, v5, v11
	s_delay_alu instid0(VALU_DEP_4) | instskip(NEXT) | instid1(VALU_DEP_4)
	v_xor_b32_e32 v6, v6, v12
	v_xor_b32_e32 v4, v4, v11
	s_delay_alu instid0(VALU_DEP_4) | instskip(NEXT) | instid1(VALU_DEP_2)
	v_xor_b32_e32 v10, v3, v12
	v_sub_co_u32 v3, vcc_lo, v4, v11
	v_sub_co_ci_u32_e32 v4, vcc_lo, v5, v11, vcc_lo
	s_delay_alu instid0(VALU_DEP_3) | instskip(SKIP_1) | instid1(VALU_DEP_3)
	v_sub_co_u32 v5, vcc_lo, v10, v12
	v_sub_co_ci_u32_e32 v6, vcc_lo, v6, v12, vcc_lo
	v_cmp_lt_i64_e32 vcc_lo, 0, v[3:4]
	s_delay_alu instid0(VALU_DEP_2) | instskip(SKIP_1) | instid1(VALU_DEP_2)
	v_cmp_lt_i64_e64 s0, s[0:1], v[5:6]
	v_dual_cndmask_b32 v4, 0, v4 :: v_dual_cndmask_b32 v3, 0, v3
	v_cndmask_b32_e64 v6, v6, s1, s0
	v_cndmask_b32_e64 v5, v5, s9, s0
	s_delay_alu instid0(VALU_DEP_1)
	v_cmpx_lt_i64_e64 v[3:4], v[5:6]
	s_cbranch_execz .LBB2_11
; %bb.2:
	s_abs_i32 s19, s2
	v_mul_lo_u32 v8, v8, s10
	v_cvt_f32_u32_e32 v10, s19
	s_sub_i32 s10, 0, s19
	s_abs_i32 s23, s24
	v_div_scale_f32 v12, null, v9, v9, 1.0
	s_delay_alu instid0(VALU_DEP_2) | instskip(SKIP_4) | instid1(VALU_DEP_3)
	v_rcp_iflag_f32_e32 v10, v10
	v_cvt_f32_u32_e32 v19, s23
	v_div_scale_f32 v14, null, s22, s22, 1.0
	v_sub_nc_u32_e32 v8, v1, v8
	v_rcp_f32_e32 v22, v12
	v_rcp_iflag_f32_e32 v19, v19
	s_abs_i32 s20, s20
	v_rcp_f32_e32 v23, v14
	v_cvt_f32_u32_e32 v21, s20
	v_mul_f32_e32 v10, 0x4f7ffffe, v10
	v_cvt_f32_u32_e32 v8, v8
	s_ashr_i32 s21, s24, 31
	s_sub_i32 s24, 0, s23
	v_ashrrev_i32_e32 v17, 31, v1
	v_cvt_u32_f32_e32 v15, v10
	v_dual_mul_f32 v19, 0x4f7ffffe, v19 :: v_dual_add_f32 v8, s18, v8
	v_fma_f32 v25, -v12, v22, 1.0
	v_fma_f32 v26, -v14, v23, 1.0
	s_delay_alu instid0(VALU_DEP_4) | instskip(NEXT) | instid1(VALU_DEP_4)
	v_mul_lo_u32 v10, s10, v15
	v_cvt_u32_f32_e32 v19, v19
	v_div_scale_f32 v28, null, s22, s22, v8
	s_ashr_i32 s2, s2, 31
	v_div_scale_f32 v13, s0, 1.0, v9, 1.0
	v_xor_b32_e32 v24, s2, v17
	v_mul_hi_u32 v20, v15, v10
	v_div_scale_f32 v16, s1, 1.0, s22, 1.0
	s_sub_i32 s25, 0, s20
	v_div_scale_f32 v30, vcc_lo, v8, s22, v8
	s_ashr_i32 s10, s5, 31
	v_mul_lo_u32 v18, v4, s5
	s_delay_alu instid0(VALU_DEP_4) | instskip(SKIP_3) | instid1(VALU_DEP_3)
	v_add_nc_u32_e32 v15, v15, v20
	v_rcp_iflag_f32_e32 v20, v21
	v_mad_u64_u32 v[10:11], null, v3, s5, 0
	v_mul_lo_u32 v21, v3, s10
	v_mul_hi_u32 v15, v7, v15
	v_fmac_f32_e32 v22, v25, v22
	v_mul_lo_u32 v25, s24, v19
	v_xor_b32_e32 v17, s21, v17
	s_ashr_i32 s9, s8, 31
	s_delay_alu instid0(TRANS32_DEP_1)
	v_dual_fmac_f32 v23, v26, v23 :: v_dual_mul_f32 v20, 0x4f7ffffe, v20
	v_rcp_f32_e32 v26, v28
	v_mul_lo_u32 v27, v15, s19
	v_add_nc_u32_e32 v29, 1, v15
	v_mul_hi_u32 v25, v19, v25
	v_cvt_u32_f32_e32 v20, v20
	v_mul_f32_e32 v33, v16, v23
	v_add3_u32 v11, v11, v21, v18
	s_delay_alu instid0(VALU_DEP_3) | instskip(SKIP_1) | instid1(TRANS32_DEP_1)
	v_mul_lo_u32 v34, s25, v20
	v_sub_nc_u32_e32 v27, v7, v27
	v_fma_f32 v32, -v28, v26, 1.0
	v_add_nc_u32_e32 v19, v19, v25
	s_delay_alu instid0(VALU_DEP_3) | instskip(SKIP_1) | instid1(VALU_DEP_3)
	v_subrev_nc_u32_e32 v31, s19, v27
	v_cmp_le_u32_e64 s2, s19, v27
	v_mul_hi_u32 v19, v7, v19
	v_fmac_f32_e32 v26, v32, v26
	s_delay_alu instid0(VALU_DEP_3) | instskip(SKIP_2) | instid1(VALU_DEP_3)
	v_cndmask_b32_e64 v15, v15, v29, s2
	v_cndmask_b32_e64 v27, v27, v31, s2
	v_mul_f32_e32 v29, v13, v22
	v_add_nc_u32_e32 v31, 1, v15
	s_delay_alu instid0(VALU_DEP_3) | instskip(NEXT) | instid1(VALU_DEP_3)
	v_cmp_le_u32_e64 s2, s19, v27
	v_fma_f32 v25, -v12, v29, v13
	v_mul_f32_e32 v27, v30, v26
	s_ashr_i32 s19, s4, 31
	s_delay_alu instid0(VALU_DEP_3) | instskip(SKIP_3) | instid1(VALU_DEP_4)
	v_cndmask_b32_e64 v15, v15, v31, s2
	v_fma_f32 v31, -v14, v33, v16
	v_fmac_f32_e32 v29, v25, v22
	v_mul_hi_u32 v25, v20, v34
	v_xor_b32_e32 v15, v15, v24
	s_delay_alu instid0(VALU_DEP_4) | instskip(NEXT) | instid1(VALU_DEP_4)
	v_fmac_f32_e32 v33, v31, v23
	v_fma_f32 v12, -v12, v29, v13
	s_delay_alu instid0(VALU_DEP_3) | instskip(SKIP_1) | instid1(VALU_DEP_4)
	v_sub_nc_u32_e32 v15, v15, v24
	v_mul_lo_u32 v24, v19, s23
	v_fma_f32 v13, -v14, v33, v16
	v_add_nc_u32_e32 v16, v20, v25
	v_add_nc_u32_e32 v20, 1, v19
	v_fma_f32 v32, -v28, v27, v30
	v_sub_nc_u32_e32 v14, 0, v15
	v_sub_nc_u32_e32 v7, v7, v24
	s_delay_alu instid0(VALU_DEP_3) | instskip(NEXT) | instid1(VALU_DEP_3)
	v_fmac_f32_e32 v27, v32, v26
	v_max_i32_e32 v14, v15, v14
	v_ashrrev_i32_e32 v15, 31, v15
	s_delay_alu instid0(VALU_DEP_4) | instskip(NEXT) | instid1(VALU_DEP_4)
	v_cmp_le_u32_e64 s2, s23, v7
	v_fma_f32 v25, -v28, v27, v30
	s_delay_alu instid0(VALU_DEP_4) | instskip(NEXT) | instid1(VALU_DEP_3)
	v_mul_hi_u32 v16, v14, v16
	v_cndmask_b32_e64 v19, v19, v20, s2
	v_subrev_nc_u32_e32 v20, s23, v7
	s_delay_alu instid0(VALU_DEP_4)
	v_div_fmas_f32 v24, v25, v26, v27
	s_mov_b32 vcc_lo, s0
	v_div_fmas_f32 v22, v12, v22, v29
	s_mov_b32 vcc_lo, s1
	v_cndmask_b32_e64 v7, v7, v20, s2
	v_div_fmas_f32 v12, v13, v23, v33
	v_mul_lo_u32 v13, v16, s20
	v_add_nc_u32_e32 v16, 1, v19
	v_div_fixup_f32 v18, v24, s22, v8
	v_cmp_le_u32_e32 vcc_lo, s23, v7
	v_div_fixup_f32 v12, v12, s22, 1.0
	s_delay_alu instid0(VALU_DEP_4) | instskip(SKIP_1) | instid1(VALU_DEP_3)
	v_cndmask_b32_e32 v7, v19, v16, vcc_lo
	v_sub_nc_u32_e32 v13, v14, v13
	v_max_f32_e32 v16, 1.0, v12
	s_delay_alu instid0(VALU_DEP_2) | instskip(NEXT) | instid1(VALU_DEP_2)
	v_subrev_nc_u32_e32 v8, s20, v13
	v_sub_f32_e32 v14, v18, v16
	v_cmp_le_u32_e32 vcc_lo, s20, v13
	v_div_scale_f32 v12, null, v16, v16, 1.0
	s_delay_alu instid0(VALU_DEP_3) | instskip(SKIP_3) | instid1(VALU_DEP_3)
	v_add_f32_e32 v14, s18, v14
	v_xor_b32_e32 v7, v7, v17
	v_cndmask_b32_e32 v8, v13, v8, vcc_lo
	v_div_scale_f32 v19, vcc_lo, 1.0, v16, 1.0
	v_sub_nc_u32_e32 v7, v7, v17
	s_delay_alu instid0(VALU_DEP_3) | instskip(SKIP_1) | instid1(VALU_DEP_3)
	v_subrev_nc_u32_e32 v17, s20, v8
	v_cmp_le_u32_e64 s0, s20, v8
	v_cvt_f32_i32_e32 v20, v7
	v_trunc_f32_e32 v7, v14
	s_delay_alu instid0(VALU_DEP_3) | instskip(SKIP_1) | instid1(VALU_DEP_3)
	v_cndmask_b32_e64 v8, v8, v17, s0
	v_rcp_f32_e32 v17, v12
	v_div_scale_f32 v14, null, s17, s17, v20
	s_delay_alu instid0(VALU_DEP_2) | instskip(SKIP_2) | instid1(VALU_DEP_4)
	v_xor_b32_e32 v8, v8, v15
	v_mul_f32_e64 v23, 0x2f800000, |v7|
	v_div_scale_f32 v21, s0, v20, s17, v20
	v_rcp_f32_e32 v27, v14
	s_delay_alu instid0(VALU_DEP_3) | instskip(NEXT) | instid1(TRANS32_DEP_2)
	v_sub_nc_u32_e32 v8, v8, v15
	v_fma_f32 v15, -v12, v17, 1.0
	v_ashrrev_i32_e32 v24, 31, v7
	s_delay_alu instid0(VALU_DEP_3) | instskip(NEXT) | instid1(VALU_DEP_3)
	v_cvt_f32_i32_e32 v26, v8
	v_fmac_f32_e32 v17, v15, v17
	v_floor_f32_e32 v8, v23
	s_delay_alu instid0(TRANS32_DEP_1) | instskip(NEXT) | instid1(VALU_DEP_4)
	v_fma_f32 v30, -v14, v27, 1.0
	v_div_scale_f32 v15, null, s16, s16, v26
	s_delay_alu instid0(VALU_DEP_4) | instskip(SKIP_1) | instid1(VALU_DEP_3)
	v_mul_f32_e32 v28, v19, v17
	v_div_scale_f32 v32, s1, v26, s16, v26
	v_rcp_f32_e32 v29, v15
	v_fmac_f32_e32 v27, v30, v27
	s_delay_alu instid0(VALU_DEP_3) | instskip(SKIP_3) | instid1(VALU_DEP_4)
	v_fma_f32 v31, -v12, v28, v19
	v_add_f32_e32 v13, v16, v18
	v_fma_f32 v7, 0xcf800000, v8, |v7|
	v_cvt_u32_f32_e32 v8, v8
	v_fmac_f32_e32 v28, v31, v17
	s_delay_alu instid0(VALU_DEP_4) | instskip(NEXT) | instid1(VALU_DEP_4)
	v_add_f32_e32 v13, s18, v13
	v_cvt_u32_f32_e32 v7, v7
	s_delay_alu instid0(TRANS32_DEP_1)
	v_fma_f32 v30, -v15, v29, 1.0
	v_xor_b32_e32 v8, v8, v24
	v_fma_f32 v12, -v12, v28, v19
	v_trunc_f32_e32 v13, v13
	v_xor_b32_e32 v7, v7, v24
	v_fmac_f32_e32 v29, v30, v29
	s_delay_alu instid0(VALU_DEP_3) | instskip(SKIP_1) | instid1(VALU_DEP_3)
	v_mul_f32_e64 v25, 0x2f800000, |v13|
	v_ashrrev_i32_e32 v23, 31, v13
	v_dual_mul_f32 v30, v32, v29 :: v_dual_mul_f32 v31, v21, v27
	v_sub_co_u32 v7, s2, v7, v24
	s_delay_alu instid0(VALU_DEP_4) | instskip(SKIP_1) | instid1(VALU_DEP_4)
	v_floor_f32_e32 v25, v25
	v_sub_co_ci_u32_e64 v8, s2, v8, v24, s2
	v_fma_f32 v19, -v14, v31, v21
	v_div_fmas_f32 v24, v12, v17, v28
	s_delay_alu instid0(VALU_DEP_4)
	v_fma_f32 v13, 0xcf800000, v25, |v13|
	s_mov_b32 vcc_lo, s0
	v_cvt_u32_f32_e32 v25, v25
	v_fmac_f32_e32 v31, v19, v27
	v_fma_f32 v19, -v15, v30, v32
	v_cvt_u32_f32_e32 v13, v13
	v_cmp_lt_i64_e64 s2, 0, v[7:8]
	v_xor_b32_e32 v25, v25, v23
	v_fma_f32 v12, -v14, v31, v21
	v_fmac_f32_e32 v30, v19, v29
	v_xor_b32_e32 v13, v13, v23
	v_cndmask_b32_e64 v8, 0, v8, s2
	s_delay_alu instid0(VALU_DEP_4) | instskip(NEXT) | instid1(VALU_DEP_4)
	v_div_fmas_f32 v12, v12, v27, v31
	v_fma_f32 v14, -v15, v30, v32
	s_mov_b32 vcc_lo, s1
	v_cndmask_b32_e64 v7, 0, v7, s2
	v_mul_lo_u32 v19, v8, s4
	v_div_fixup_f32 v15, v12, s17, v20
	v_div_fmas_f32 v14, v14, v29, v30
	v_sub_co_u32 v12, vcc_lo, v13, v23
	v_sub_co_ci_u32_e32 v13, vcc_lo, v25, v23, vcc_lo
	s_delay_alu instid0(VALU_DEP_4) | instskip(NEXT) | instid1(VALU_DEP_4)
	v_cvt_i32_f32_e32 v17, v15
	v_div_fixup_f32 v20, v14, s16, v26
	v_mul_lo_u32 v21, v7, s19
	s_delay_alu instid0(VALU_DEP_4)
	v_cmp_lt_i64_e32 vcc_lo, s[8:9], v[12:13]
	v_mad_u64_u32 v[14:15], null, v7, s4, v[10:11]
	v_mul_lo_u32 v11, v17, s7
	v_cvt_i32_f32_e32 v23, v20
	v_div_fixup_f32 v20, v22, v9, 1.0
	v_cndmask_b32_e64 v10, v13, s9, vcc_lo
	v_mov_b32_e32 v17, 0
	s_mov_b32 s2, s4
	v_mul_lo_u32 v13, v23, s6
	v_add3_u32 v9, v19, v15, v21
	v_ashrrev_i32_e32 v15, 31, v11
	v_add_co_u32 v11, s0, v14, v11
	v_div_fixup_f32 v21, v24, v16, 1.0
	v_mov_b32_e32 v19, 0
	s_delay_alu instid0(VALU_DEP_4) | instskip(SKIP_4) | instid1(VALU_DEP_3)
	v_add_co_ci_u32_e64 v14, s0, v9, v15, s0
	v_ashrrev_i32_e32 v15, 31, v13
	v_cndmask_b32_e64 v9, v12, s8, vcc_lo
	v_add_co_u32 v11, vcc_lo, v11, v13
	s_mov_b32 s4, s5
	v_add_co_ci_u32_e32 v12, vcc_lo, v14, v15, vcc_lo
	s_delay_alu instid0(VALU_DEP_2) | instskip(SKIP_1) | instid1(VALU_DEP_3)
	v_add_co_u32 v11, s0, s12, v11
	v_cmp_lt_i64_e32 vcc_lo, v[7:8], v[9:10]
	v_add_co_ci_u32_e64 v12, s0, s13, v12, s0
	s_branch .LBB2_5
.LBB2_3:                                ;   in Loop: Header=BB2_5 Depth=1
	s_set_inst_prefetch_distance 0x2
	s_or_b32 exec_lo, exec_lo, s6
.LBB2_4:                                ;   in Loop: Header=BB2_5 Depth=1
	s_delay_alu instid0(SALU_CYCLE_1) | instskip(SKIP_1) | instid1(VALU_DEP_1)
	s_or_b32 exec_lo, exec_lo, s5
	v_add_co_u32 v3, s0, v3, 1
	v_add_co_ci_u32_e64 v4, s0, 0, v4, s0
	v_add_co_u32 v11, s1, v11, s4
	s_delay_alu instid0(VALU_DEP_1) | instskip(NEXT) | instid1(VALU_DEP_3)
	v_add_co_ci_u32_e64 v12, s1, s10, v12, s1
	v_cmp_ge_i64_e64 s0, v[3:4], v[5:6]
	s_delay_alu instid0(VALU_DEP_1) | instskip(NEXT) | instid1(SALU_CYCLE_1)
	s_or_b32 s11, s0, s11
	s_and_not1_b32 exec_lo, exec_lo, s11
	s_cbranch_execz .LBB2_10
.LBB2_5:                                ; =>This Loop Header: Depth=1
                                        ;     Child Loop BB2_8 Depth 2
	s_and_saveexec_b32 s5, vcc_lo
	s_cbranch_execz .LBB2_4
; %bb.6:                                ;   in Loop: Header=BB2_5 Depth=1
	v_clz_i32_u32_e32 v13, v4
	s_mov_b32 s6, 0
	s_delay_alu instid0(VALU_DEP_1) | instskip(NEXT) | instid1(VALU_DEP_1)
	v_min_u32_e32 v15, 32, v13
	v_lshlrev_b64 v[13:14], v15, v[3:4]
	s_delay_alu instid0(VALU_DEP_1) | instskip(NEXT) | instid1(VALU_DEP_1)
	v_min_u32_e32 v13, 1, v13
	v_or_b32_e32 v13, v14, v13
	v_sub_nc_u32_e32 v14, 32, v15
	s_delay_alu instid0(VALU_DEP_2) | instskip(NEXT) | instid1(VALU_DEP_1)
	v_cvt_f32_u32_e32 v13, v13
	v_ldexp_f32 v13, v13, v14
	s_delay_alu instid0(VALU_DEP_1) | instskip(NEXT) | instid1(VALU_DEP_1)
	v_sub_f32_e32 v13, v13, v0
	v_add_f32_e32 v13, s18, v13
	s_delay_alu instid0(VALU_DEP_1) | instskip(NEXT) | instid1(VALU_DEP_1)
	v_mul_f32_e32 v13, v20, v13
	v_sub_f32_e64 v15, 1.0, |v13|
	v_dual_mov_b32 v14, v12 :: v_dual_mov_b32 v13, v11
	s_delay_alu instid0(VALU_DEP_2)
	v_max_f32_e32 v22, 0, v15
	v_dual_mov_b32 v16, v8 :: v_dual_mov_b32 v15, v7
	s_set_inst_prefetch_distance 0x1
	s_branch .LBB2_8
	.p2align	6
.LBB2_7:                                ;   in Loop: Header=BB2_8 Depth=2
	s_or_b32 exec_lo, exec_lo, s1
	v_add_co_u32 v15, s0, v15, 1
	s_delay_alu instid0(VALU_DEP_1) | instskip(SKIP_1) | instid1(VALU_DEP_1)
	v_add_co_ci_u32_e64 v16, s0, 0, v16, s0
	v_add_co_u32 v13, s1, v13, s2
	v_add_co_ci_u32_e64 v14, s1, s19, v14, s1
	s_delay_alu instid0(VALU_DEP_3) | instskip(NEXT) | instid1(VALU_DEP_1)
	v_cmp_ge_i64_e64 s0, v[15:16], v[9:10]
	s_or_b32 s6, s0, s6
	s_delay_alu instid0(SALU_CYCLE_1)
	s_and_not1_b32 exec_lo, exec_lo, s6
	s_cbranch_execz .LBB2_3
.LBB2_8:                                ;   Parent Loop BB2_5 Depth=1
                                        ; =>  This Inner Loop Header: Depth=2
	s_delay_alu instid0(VALU_DEP_1) | instskip(SKIP_1) | instid1(VALU_DEP_1)
	v_clz_i32_u32_e32 v23, v16
	s_mov_b32 s1, exec_lo
	v_min_u32_e32 v25, 32, v23
	s_delay_alu instid0(VALU_DEP_1) | instskip(NEXT) | instid1(VALU_DEP_1)
	v_lshlrev_b64 v[23:24], v25, v[15:16]
	v_min_u32_e32 v23, 1, v23
	s_delay_alu instid0(VALU_DEP_1) | instskip(SKIP_1) | instid1(VALU_DEP_2)
	v_or_b32_e32 v23, v24, v23
	v_sub_nc_u32_e32 v24, 32, v25
	v_cvt_f32_u32_e32 v23, v23
	s_delay_alu instid0(VALU_DEP_1) | instskip(NEXT) | instid1(VALU_DEP_1)
	v_ldexp_f32 v23, v23, v24
	v_sub_f32_e32 v23, v23, v18
	s_delay_alu instid0(VALU_DEP_1) | instskip(NEXT) | instid1(VALU_DEP_1)
	v_add_f32_e32 v23, s18, v23
	v_mul_f32_e32 v23, v21, v23
	s_delay_alu instid0(VALU_DEP_1) | instskip(NEXT) | instid1(VALU_DEP_1)
	v_sub_f32_e64 v23, 1.0, |v23|
	v_max_f32_e32 v23, 0, v23
	s_delay_alu instid0(VALU_DEP_1) | instskip(NEXT) | instid1(VALU_DEP_1)
	v_mul_f32_e32 v23, v22, v23
	v_cmpx_nge_f32_e32 0, v23
	s_cbranch_execz .LBB2_7
; %bb.9:                                ;   in Loop: Header=BB2_8 Depth=2
	global_load_b32 v24, v[13:14], off
	v_add_f32_e32 v19, v19, v23
	s_waitcnt vmcnt(0)
	v_fmac_f32_e32 v17, v23, v24
	s_branch .LBB2_7
.LBB2_10:
	s_or_b32 exec_lo, exec_lo, s11
.LBB2_11:
	s_delay_alu instid0(SALU_CYCLE_1) | instskip(SKIP_2) | instid1(VALU_DEP_2)
	s_or_b32 exec_lo, exec_lo, s3
	v_div_scale_f32 v0, null, v19, v19, v17
	v_div_scale_f32 v5, vcc_lo, v17, v19, v17
	v_rcp_f32_e32 v3, v0
	s_waitcnt_depctr 0xfff
	v_fma_f32 v4, -v0, v3, 1.0
	s_delay_alu instid0(VALU_DEP_1) | instskip(NEXT) | instid1(VALU_DEP_1)
	v_fmac_f32_e32 v3, v4, v3
	v_mul_f32_e32 v4, v5, v3
	s_delay_alu instid0(VALU_DEP_1) | instskip(NEXT) | instid1(VALU_DEP_1)
	v_fma_f32 v6, -v0, v4, v5
	v_fmac_f32_e32 v4, v6, v3
	s_delay_alu instid0(VALU_DEP_1) | instskip(NEXT) | instid1(VALU_DEP_1)
	v_fma_f32 v0, -v0, v4, v5
	v_div_fmas_f32 v0, v0, v3, v4
	v_cmp_lt_f32_e32 vcc_lo, 0, v19
	s_delay_alu instid0(VALU_DEP_2) | instskip(SKIP_1) | instid1(VALU_DEP_2)
	v_div_fixup_f32 v3, v0, v19, v17
	v_lshlrev_b64 v[0:1], 2, v[1:2]
	v_cndmask_b32_e32 v2, v17, v3, vcc_lo
	s_delay_alu instid0(VALU_DEP_2) | instskip(NEXT) | instid1(VALU_DEP_3)
	v_add_co_u32 v0, vcc_lo, s14, v0
	v_add_co_ci_u32_e32 v1, vcc_lo, s15, v1, vcc_lo
	global_store_b32 v[0:1], v2, off
.LBB2_12:
	s_nop 0
	s_sendmsg sendmsg(MSG_DEALLOC_VGPRS)
	s_endpgm
	.section	.rodata,"a",@progbits
	.p2align	6, 0x0
	.amdhsa_kernel _ZL30upscale_f32_bilinear_antialiasPKfPfiiiiiiiiiifffff
		.amdhsa_group_segment_fixed_size 0
		.amdhsa_private_segment_fixed_size 0
		.amdhsa_kernarg_size 336
		.amdhsa_user_sgpr_count 15
		.amdhsa_user_sgpr_dispatch_ptr 0
		.amdhsa_user_sgpr_queue_ptr 0
		.amdhsa_user_sgpr_kernarg_segment_ptr 1
		.amdhsa_user_sgpr_dispatch_id 0
		.amdhsa_user_sgpr_private_segment_size 0
		.amdhsa_wavefront_size32 1
		.amdhsa_uses_dynamic_stack 0
		.amdhsa_enable_private_segment 0
		.amdhsa_system_sgpr_workgroup_id_x 1
		.amdhsa_system_sgpr_workgroup_id_y 0
		.amdhsa_system_sgpr_workgroup_id_z 0
		.amdhsa_system_sgpr_workgroup_info 0
		.amdhsa_system_vgpr_workitem_id 0
		.amdhsa_next_free_vgpr 35
		.amdhsa_next_free_sgpr 26
		.amdhsa_reserve_vcc 1
		.amdhsa_float_round_mode_32 0
		.amdhsa_float_round_mode_16_64 0
		.amdhsa_float_denorm_mode_32 3
		.amdhsa_float_denorm_mode_16_64 3
		.amdhsa_dx10_clamp 1
		.amdhsa_ieee_mode 1
		.amdhsa_fp16_overflow 0
		.amdhsa_workgroup_processor_mode 1
		.amdhsa_memory_ordered 1
		.amdhsa_forward_progress 0
		.amdhsa_shared_vgpr_count 0
		.amdhsa_exception_fp_ieee_invalid_op 0
		.amdhsa_exception_fp_denorm_src 0
		.amdhsa_exception_fp_ieee_div_zero 0
		.amdhsa_exception_fp_ieee_overflow 0
		.amdhsa_exception_fp_ieee_underflow 0
		.amdhsa_exception_fp_ieee_inexact 0
		.amdhsa_exception_int_div_zero 0
	.end_amdhsa_kernel
	.section	.text._ZL30upscale_f32_bilinear_antialiasPKfPfiiiiiiiiiifffff,"axG",@progbits,_ZL30upscale_f32_bilinear_antialiasPKfPfiiiiiiiiiifffff,comdat
.Lfunc_end2:
	.size	_ZL30upscale_f32_bilinear_antialiasPKfPfiiiiiiiiiifffff, .Lfunc_end2-_ZL30upscale_f32_bilinear_antialiasPKfPfiiiiiiiiiifffff
                                        ; -- End function
	.section	.AMDGPU.csdata,"",@progbits
; Kernel info:
; codeLenInByte = 2820
; NumSgprs: 28
; NumVgprs: 35
; ScratchSize: 0
; MemoryBound: 0
; FloatMode: 240
; IeeeMode: 1
; LDSByteSize: 0 bytes/workgroup (compile time only)
; SGPRBlocks: 3
; VGPRBlocks: 4
; NumSGPRsForWavesPerEU: 28
; NumVGPRsForWavesPerEU: 35
; Occupancy: 16
; WaveLimiterHint : 0
; COMPUTE_PGM_RSRC2:SCRATCH_EN: 0
; COMPUTE_PGM_RSRC2:USER_SGPR: 15
; COMPUTE_PGM_RSRC2:TRAP_HANDLER: 0
; COMPUTE_PGM_RSRC2:TGID_X_EN: 1
; COMPUTE_PGM_RSRC2:TGID_Y_EN: 0
; COMPUTE_PGM_RSRC2:TGID_Z_EN: 0
; COMPUTE_PGM_RSRC2:TIDIG_COMP_CNT: 0
	.section	.text._ZL19upscale_f32_bicubicPKfPfiiiiiiiiiifffff,"axG",@progbits,_ZL19upscale_f32_bicubicPKfPfiiiiiiiiiifffff,comdat
	.globl	_ZL19upscale_f32_bicubicPKfPfiiiiiiiiiifffff ; -- Begin function _ZL19upscale_f32_bicubicPKfPfiiiiiiiiiifffff
	.p2align	8
	.type	_ZL19upscale_f32_bicubicPKfPfiiiiiiiiiifffff,@function
_ZL19upscale_f32_bicubicPKfPfiiiiiiiiiifffff: ; @_ZL19upscale_f32_bicubicPKfPfiiiiiiiiiifffff
; %bb.0:
	s_clause 0x2
	s_load_b32 s2, s[0:1], 0x5c
	s_load_b256 s[4:11], s[0:1], 0x10
	s_load_b128 s[16:19], s[0:1], 0x30
	s_waitcnt lgkmcnt(0)
	s_and_b32 s2, s2, 0xffff
	s_delay_alu instid0(SALU_CYCLE_1) | instskip(SKIP_3) | instid1(SALU_CYCLE_1)
	v_mad_u64_u32 v[1:2], null, s15, s2, v[0:1]
	s_mul_i32 s2, s11, s10
	v_mov_b32_e32 v2, 0
	s_mul_i32 s3, s2, s16
	s_mul_i32 s12, s3, s17
	s_delay_alu instid0(SALU_CYCLE_1)
	s_ashr_i32 s13, s12, 31
	s_delay_alu instid0(VALU_DEP_1) | instid1(SALU_CYCLE_1)
	v_cmp_gt_i64_e32 vcc_lo, s[12:13], v[1:2]
	s_and_saveexec_b32 s12, vcc_lo
	s_cbranch_execz .LBB3_2
; %bb.1:
	s_abs_i32 s12, s10
	s_abs_i32 s13, s2
	v_cvt_f32_u32_e32 v0, s12
	v_cvt_f32_u32_e32 v3, s13
	s_sub_i32 s15, 0, s13
	s_sub_i32 s14, 0, s12
	s_abs_i32 s11, s11
	v_rcp_iflag_f32_e32 v0, v0
	v_rcp_iflag_f32_e32 v3, v3
	v_sub_nc_u32_e32 v4, 0, v1
	v_cvt_f32_u32_e32 v8, s11
	s_ashr_i32 s2, s2, 31
	v_xor_b32_e32 v10, s10, v1
	s_load_b128 s[20:23], s[0:1], 0x40
	v_max_i32_e32 v4, v1, v4
	v_rcp_iflag_f32_e32 v8, v8
	s_delay_alu instid0(VALU_DEP_2) | instskip(NEXT) | instid1(TRANS32_DEP_2)
	v_ashrrev_i32_e32 v10, 31, v10
	v_dual_mul_f32 v0, 0x4f7ffffe, v0 :: v_dual_mul_f32 v3, 0x4f7ffffe, v3
	s_delay_alu instid0(VALU_DEP_1) | instskip(NEXT) | instid1(VALU_DEP_2)
	v_cvt_u32_f32_e32 v0, v0
	v_cvt_u32_f32_e32 v3, v3
	s_delay_alu instid0(VALU_DEP_2) | instskip(NEXT) | instid1(VALU_DEP_2)
	v_mul_lo_u32 v5, s14, v0
	v_mul_lo_u32 v6, s15, v3
	s_abs_i32 s14, s3
	s_abs_i32 s15, s16
	v_cvt_f32_u32_e32 v7, s14
	v_cvt_f32_u32_e32 v9, s15
	s_sub_i32 s17, 0, s14
	s_sub_i32 s16, 0, s11
	v_mul_hi_u32 v5, v0, v5
	v_mul_hi_u32 v6, v3, v6
	v_rcp_iflag_f32_e32 v7, v7
	v_rcp_iflag_f32_e32 v9, v9
	s_delay_alu instid0(VALU_DEP_2) | instskip(NEXT) | instid1(VALU_DEP_2)
	v_add_nc_u32_e32 v0, v0, v5
	v_add_nc_u32_e32 v3, v3, v6
	v_ashrrev_i32_e32 v5, 31, v1
	s_waitcnt_depctr 0xfff
	v_dual_mul_f32 v6, 0x4f7ffffe, v7 :: v_dual_mul_f32 v7, 0x4f7ffffe, v8
	v_mul_hi_u32 v3, v4, v3
	v_mul_hi_u32 v0, v4, v0
	v_mul_f32_e32 v8, 0x4f7ffffe, v9
	v_xor_b32_e32 v13, s2, v5
	v_cvt_u32_f32_e32 v6, v6
	v_cvt_u32_f32_e32 v7, v7
	v_add_nc_u32_e32 v15, 1, v3
	v_mul_lo_u32 v11, v3, s13
	v_mul_lo_u32 v9, v0, s12
	v_cvt_u32_f32_e32 v8, v8
	v_mul_lo_u32 v12, s17, v6
	s_sub_i32 s17, 0, s15
	v_mul_lo_u32 v14, s16, v7
	v_sub_nc_u32_e32 v11, v4, v11
	v_sub_nc_u32_e32 v9, v4, v9
	s_delay_alu instid0(VALU_DEP_4) | instskip(NEXT) | instid1(VALU_DEP_3)
	v_mul_hi_u32 v12, v6, v12
	v_subrev_nc_u32_e32 v18, s13, v11
	v_cmp_le_u32_e32 vcc_lo, s13, v11
	v_add_nc_u32_e32 v16, 1, v0
	v_subrev_nc_u32_e32 v17, s12, v9
	v_cmp_le_u32_e64 s2, s12, v9
	v_cndmask_b32_e32 v3, v3, v15, vcc_lo
	v_cndmask_b32_e32 v11, v11, v18, vcc_lo
	v_mul_lo_u32 v15, s17, v8
	s_delay_alu instid0(VALU_DEP_4)
	v_cndmask_b32_e64 v0, v0, v16, s2
	v_cndmask_b32_e64 v9, v9, v17, s2
	v_add_nc_u32_e32 v16, 1, v3
	v_cmp_le_u32_e32 vcc_lo, s13, v11
	s_ashr_i32 s2, s3, 31
	v_add_nc_u32_e32 v17, 1, v0
	v_xor_b32_e32 v5, s2, v5
	v_mul_hi_u32 v11, v8, v15
	v_cndmask_b32_e32 v3, v3, v16, vcc_lo
	v_cmp_le_u32_e32 vcc_lo, s12, v9
	v_mul_hi_u32 v9, v7, v14
	v_cndmask_b32_e32 v0, v0, v17, vcc_lo
	s_delay_alu instid0(VALU_DEP_4) | instskip(SKIP_1) | instid1(VALU_DEP_4)
	v_xor_b32_e32 v3, v3, v13
	v_add_nc_u32_e32 v8, v8, v11
	v_add_nc_u32_e32 v7, v7, v9
	s_delay_alu instid0(VALU_DEP_4) | instskip(NEXT) | instid1(VALU_DEP_4)
	v_xor_b32_e32 v0, v0, v10
	v_sub_nc_u32_e32 v3, v3, v13
	s_delay_alu instid0(VALU_DEP_2) | instskip(NEXT) | instid1(VALU_DEP_1)
	v_sub_nc_u32_e32 v0, v0, v10
	v_sub_nc_u32_e32 v13, 0, v0
	s_delay_alu instid0(VALU_DEP_1) | instskip(NEXT) | instid1(VALU_DEP_1)
	v_max_i32_e32 v11, v0, v13
	v_mul_hi_u32 v7, v11, v7
	s_delay_alu instid0(VALU_DEP_1) | instskip(NEXT) | instid1(VALU_DEP_1)
	v_mul_lo_u32 v7, v7, s11
	v_sub_nc_u32_e32 v7, v11, v7
	v_add_nc_u32_e32 v6, v6, v12
	v_sub_nc_u32_e32 v12, 0, v3
	s_delay_alu instid0(VALU_DEP_2) | instskip(NEXT) | instid1(VALU_DEP_2)
	v_mul_hi_u32 v6, v4, v6
	v_max_i32_e32 v9, v3, v12
	v_ashrrev_i32_e32 v3, 31, v3
	s_delay_alu instid0(VALU_DEP_2) | instskip(NEXT) | instid1(VALU_DEP_4)
	v_mul_hi_u32 v8, v9, v8
	v_mul_lo_u32 v10, v6, s14
	v_add_nc_u32_e32 v12, 1, v6
	s_delay_alu instid0(VALU_DEP_3) | instskip(NEXT) | instid1(VALU_DEP_3)
	v_mul_lo_u32 v8, v8, s15
	v_sub_nc_u32_e32 v4, v4, v10
	s_delay_alu instid0(VALU_DEP_1) | instskip(SKIP_1) | instid1(VALU_DEP_4)
	v_cmp_le_u32_e32 vcc_lo, s14, v4
	v_subrev_nc_u32_e32 v10, s14, v4
	v_sub_nc_u32_e32 v8, v9, v8
	v_subrev_nc_u32_e32 v9, s11, v7
	v_cndmask_b32_e32 v6, v6, v12, vcc_lo
	s_delay_alu instid0(VALU_DEP_4) | instskip(NEXT) | instid1(VALU_DEP_2)
	v_cndmask_b32_e32 v4, v4, v10, vcc_lo
	v_add_nc_u32_e32 v10, 1, v6
	s_delay_alu instid0(VALU_DEP_2) | instskip(NEXT) | instid1(VALU_DEP_2)
	v_cmp_le_u32_e32 vcc_lo, s14, v4
	v_cndmask_b32_e32 v4, v6, v10, vcc_lo
	v_subrev_nc_u32_e32 v6, s15, v8
	v_cmp_le_u32_e32 vcc_lo, s15, v8
	s_delay_alu instid0(VALU_DEP_3) | instskip(NEXT) | instid1(VALU_DEP_3)
	v_xor_b32_e32 v4, v4, v5
	v_cndmask_b32_e32 v6, v8, v6, vcc_lo
	v_cmp_le_u32_e32 vcc_lo, s11, v7
	s_delay_alu instid0(VALU_DEP_3) | instskip(SKIP_1) | instid1(VALU_DEP_4)
	v_sub_nc_u32_e32 v4, v4, v5
	v_mul_lo_u32 v5, v0, s10
	v_subrev_nc_u32_e32 v8, s15, v6
	v_cndmask_b32_e32 v7, v7, v9, vcc_lo
	v_cmp_le_u32_e32 vcc_lo, s15, v6
	v_cvt_f32_i32_e32 v4, v4
	v_ashrrev_i32_e32 v0, 31, v0
	s_load_b128 s[12:15], s[0:1], 0x0
	v_subrev_nc_u32_e32 v9, s11, v7
	v_cndmask_b32_e32 v6, v6, v8, vcc_lo
	v_cmp_le_u32_e32 vcc_lo, s11, v7
	s_waitcnt lgkmcnt(0)
	v_div_scale_f32 v8, null, s21, s21, v4
	v_sub_nc_u32_e32 v5, v1, v5
	v_xor_b32_e32 v6, v6, v3
	v_cndmask_b32_e32 v7, v7, v9, vcc_lo
	v_div_scale_f32 v14, s0, v4, s21, v4
	s_delay_alu instid0(VALU_DEP_4) | instskip(NEXT) | instid1(VALU_DEP_4)
	v_cvt_f32_u32_e32 v5, v5
	v_sub_nc_u32_e32 v3, v6, v3
	s_delay_alu instid0(VALU_DEP_4) | instskip(SKIP_1) | instid1(VALU_DEP_3)
	v_xor_b32_e32 v7, v7, v0
	v_rcp_f32_e32 v6, v8
	v_add_f32_e32 v5, s22, v5
	s_delay_alu instid0(VALU_DEP_3) | instskip(NEXT) | instid1(VALU_DEP_3)
	v_cvt_f32_i32_e32 v3, v3
	v_sub_nc_u32_e32 v0, v7, v0
	s_delay_alu instid0(VALU_DEP_3) | instskip(NEXT) | instid1(VALU_DEP_2)
	v_div_scale_f32 v9, null, s18, s18, v5
	v_cvt_f32_i32_e32 v0, v0
	s_waitcnt_depctr 0xfff
	v_fma_f32 v10, -v8, v6, 1.0
	v_div_scale_f32 v7, null, s20, s20, v3
	v_rcp_f32_e32 v13, v9
	v_div_scale_f32 v19, vcc_lo, v3, s20, v3
	s_delay_alu instid0(VALU_DEP_3) | instskip(SKIP_3) | instid1(VALU_DEP_3)
	v_fmac_f32_e32 v6, v10, v6
	v_add_f32_e32 v0, s22, v0
	v_rcp_f32_e32 v11, v7
	v_div_scale_f32 v15, s1, v5, s18, v5
	v_mul_f32_e32 v17, v14, v6
	s_delay_alu instid0(VALU_DEP_3) | instskip(NEXT) | instid1(TRANS32_DEP_2)
	v_div_scale_f32 v12, null, s19, s19, v0
	v_fma_f32 v18, -v9, v13, 1.0
	s_delay_alu instid0(VALU_DEP_3) | instskip(NEXT) | instid1(VALU_DEP_3)
	v_fma_f32 v21, -v8, v17, v14
	v_rcp_f32_e32 v10, v12
	s_delay_alu instid0(TRANS32_DEP_2) | instskip(NEXT) | instid1(VALU_DEP_3)
	v_fma_f32 v16, -v7, v11, 1.0
	v_fmac_f32_e32 v13, v18, v13
	v_div_scale_f32 v18, s2, v0, s19, v0
	v_fmac_f32_e32 v17, v21, v6
	s_delay_alu instid0(VALU_DEP_4) | instskip(SKIP_3) | instid1(VALU_DEP_2)
	v_fmac_f32_e32 v11, v16, v11
	s_waitcnt_depctr 0xfff
	v_fma_f32 v16, -v12, v10, 1.0
	v_fma_f32 v8, -v8, v17, v14
	v_fmac_f32_e32 v10, v16, v10
	v_mul_f32_e32 v20, v19, v11
	s_delay_alu instid0(VALU_DEP_2) | instskip(NEXT) | instid1(VALU_DEP_2)
	v_dual_mul_f32 v16, v15, v13 :: v_dual_mul_f32 v23, v18, v10
	v_fma_f32 v22, -v7, v20, v19
	s_delay_alu instid0(VALU_DEP_2) | instskip(NEXT) | instid1(VALU_DEP_3)
	v_fma_f32 v24, -v9, v16, v15
	v_fma_f32 v21, -v12, v23, v18
	s_delay_alu instid0(VALU_DEP_3) | instskip(NEXT) | instid1(VALU_DEP_2)
	v_fmac_f32_e32 v20, v22, v11
	v_dual_fmac_f32 v16, v24, v13 :: v_dual_fmac_f32 v23, v21, v10
	s_delay_alu instid0(VALU_DEP_2) | instskip(NEXT) | instid1(VALU_DEP_2)
	v_fma_f32 v7, -v7, v20, v19
	v_fma_f32 v9, -v9, v16, v15
	s_delay_alu instid0(VALU_DEP_2) | instskip(NEXT) | instid1(VALU_DEP_4)
	v_div_fmas_f32 v7, v7, v11, v20
	v_fma_f32 v11, -v12, v23, v18
	s_mov_b32 vcc_lo, s0
	s_add_i32 s0, s8, -1
	v_div_fmas_f32 v6, v8, v6, v17
	s_mov_b32 vcc_lo, s2
	v_div_fixup_f32 v3, v7, s20, v3
	v_div_fmas_f32 v8, v11, v10, v23
	s_mov_b32 vcc_lo, s1
	s_add_i32 s1, s9, -1
	v_div_fmas_f32 v9, v9, v13, v16
	v_cvt_i32_f32_e32 v7, v3
	v_div_fixup_f32 v0, v8, s19, v0
	s_delay_alu instid0(VALU_DEP_3) | instskip(NEXT) | instid1(VALU_DEP_1)
	v_div_fixup_f32 v5, v9, s18, v5
	v_dual_subrev_f32 v0, s22, v0 :: v_dual_subrev_f32 v29, s22, v5
	v_div_fixup_f32 v5, v6, s21, v4
	s_delay_alu instid0(VALU_DEP_2) | instskip(SKIP_1) | instid1(VALU_DEP_4)
	v_floor_f32_e32 v6, v0
	v_mad_i64_i32 v[3:4], null, v7, s6, s[12:13]
	v_floor_f32_e32 v7, v29
	s_delay_alu instid0(VALU_DEP_4) | instskip(NEXT) | instid1(VALU_DEP_4)
	v_cvt_i32_f32_e32 v8, v5
	v_cvt_i32_f32_e32 v30, v6
	s_delay_alu instid0(VALU_DEP_3) | instskip(NEXT) | instid1(VALU_DEP_3)
	v_cvt_i32_f32_e32 v31, v7
	v_mad_i64_i32 v[5:6], null, v8, s7, v[3:4]
	s_delay_alu instid0(VALU_DEP_3)
	v_add_nc_u32_e32 v3, -1, v30
	v_minmax_i32 v7, v30, s1, 0
	v_add_nc_u32_e32 v8, 1, v30
	v_minmax_i32 v10, v31, s0, 0
	v_add_nc_u32_e32 v9, -1, v31
	v_add_nc_u32_e32 v11, 1, v31
	v_add_nc_u32_e32 v12, 2, v31
	v_minmax_i32 v13, v3, s1, 0
	v_mad_i64_i32 v[3:4], null, v7, s5, 0
	v_minmax_i32 v14, v8, s1, 0
	v_mad_i64_i32 v[7:8], null, v10, s4, v[5:6]
	v_minmax_i32 v15, v9, s0, 0
	v_minmax_i32 v17, v11, s0, 0
	v_minmax_i32 v19, v12, s0, 0
	v_mad_i64_i32 v[9:10], null, v13, s5, 0
	v_mad_i64_i32 v[11:12], null, v14, s5, 0
	;; [unrolled: 1-line block ×5, first 2 shown]
	v_add_co_u32 v5, vcc_lo, v7, v3
	v_add_co_ci_u32_e32 v6, vcc_lo, v8, v4, vcc_lo
	v_add_co_u32 v19, vcc_lo, v7, v9
	v_add_co_ci_u32_e32 v20, vcc_lo, v8, v10, vcc_lo
	;; [unrolled: 2-line block ×7, first 2 shown]
	s_clause 0x6
	global_load_b32 v21, v[21:22], off
	global_load_b32 v19, v[19:20], off
	;; [unrolled: 1-line block ×7, first 2 shown]
	s_mov_b32 s0, 0xbf400000
	v_add_nc_u32_e32 v26, 2, v30
	v_add_co_u32 v5, vcc_lo, v13, v11
	v_add_co_ci_u32_e32 v6, vcc_lo, v14, v12, vcc_lo
	v_add_co_u32 v9, vcc_lo, v7, v11
	s_delay_alu instid0(VALU_DEP_4)
	v_minmax_i32 v26, v26, s1, 0
	v_add_co_ci_u32_e32 v10, vcc_lo, v8, v12, vcc_lo
	v_add_co_u32 v3, vcc_lo, v17, v3
	s_clause 0x1
	global_load_b32 v27, v[5:6], off
	global_load_b32 v28, v[9:10], off
	v_mad_i64_i32 v[5:6], null, v26, s5, 0
	v_add_co_ci_u32_e32 v4, vcc_lo, v18, v4, vcc_lo
	v_add_co_u32 v9, vcc_lo, v15, v11
	v_add_co_ci_u32_e32 v10, vcc_lo, v16, v12, vcc_lo
	v_add_co_u32 v11, vcc_lo, v17, v11
	;; [unrolled: 2-line block ×4, first 2 shown]
	v_add_co_ci_u32_e32 v14, vcc_lo, v14, v6, vcc_lo
	global_load_b32 v26, v[7:8], off
	v_add_co_u32 v7, vcc_lo, v15, v5
	v_add_co_ci_u32_e32 v8, vcc_lo, v16, v6, vcc_lo
	s_clause 0x4
	global_load_b32 v13, v[13:14], off
	global_load_b32 v9, v[9:10], off
	global_load_b32 v10, v[11:12], off
	global_load_b32 v11, v[3:4], off
	global_load_b32 v7, v[7:8], off
	v_add_co_u32 v3, vcc_lo, v17, v5
	v_add_co_ci_u32_e32 v4, vcc_lo, v18, v6, vcc_lo
	v_cvt_f32_i32_e32 v5, v31
	s_mov_b32 s1, 0x3fa00000
	global_load_b32 v3, v[3:4], off
	v_cvt_f32_i32_e32 v4, v30
	s_delay_alu instid0(VALU_DEP_1) | instskip(SKIP_1) | instid1(VALU_DEP_1)
	v_sub_f32_e32 v0, v0, v4
	v_sub_f32_e32 v4, v29, v5
	v_add_f32_e32 v8, 1.0, v4
	s_delay_alu instid0(VALU_DEP_1) | instskip(NEXT) | instid1(VALU_DEP_1)
	v_fmaak_f32 v16, s0, v8, 0x40700000
	v_fmaak_f32 v16, v8, v16, 0xc0c00000
	s_delay_alu instid0(VALU_DEP_1) | instskip(SKIP_1) | instid1(VALU_DEP_1)
	v_fmaak_f32 v8, v8, v16, 0x40400000
	s_waitcnt vmcnt(15)
	v_mul_f32_e32 v21, v21, v8
	s_waitcnt vmcnt(11)
	v_mul_f32_e32 v23, v23, v8
	v_sub_f32_e32 v15, 1.0, v4
	s_delay_alu instid0(VALU_DEP_1) | instskip(NEXT) | instid1(VALU_DEP_1)
	v_fmaak_f32 v32, s1, v15, 0xc0100000
	v_mul_f32_e32 v32, v15, v32
	s_delay_alu instid0(VALU_DEP_1) | instskip(SKIP_1) | instid1(VALU_DEP_1)
	v_fma_f32 v15, v15, v32, 1.0
	v_add_f32_e32 v14, 0, v4
	v_fmaak_f32 v29, s1, v14, 0xc0100000
	v_add_f32_e32 v5, 1.0, v0
	s_delay_alu instid0(VALU_DEP_2) | instskip(NEXT) | instid1(VALU_DEP_2)
	v_mul_f32_e32 v29, v14, v29
	v_dual_fmaak_f32 v17, s0, v5, 0x40700000 :: v_dual_add_f32 v6, 0, v0
	s_delay_alu instid0(VALU_DEP_2) | instskip(NEXT) | instid1(VALU_DEP_2)
	v_fma_f32 v14, v14, v29, 1.0
	v_dual_fmaak_f32 v17, v5, v17, 0xc0c00000 :: v_dual_sub_f32 v4, 2.0, v4
	s_delay_alu instid0(VALU_DEP_3) | instskip(SKIP_1) | instid1(VALU_DEP_3)
	v_fmaak_f32 v18, s1, v6, 0xc0100000
	s_waitcnt vmcnt(10)
	v_dual_sub_f32 v12, 1.0, v0 :: v_dual_fmac_f32 v23, v24, v14
	s_delay_alu instid0(VALU_DEP_3) | instskip(SKIP_3) | instid1(VALU_DEP_2)
	v_fmaak_f32 v5, v5, v17, 0x40400000
	v_dual_fmaak_f32 v16, s0, v4, 0x40700000 :: v_dual_fmac_f32 v21, v19, v14
	s_waitcnt vmcnt(6)
	v_mul_f32_e32 v17, v14, v26
	v_dual_fmac_f32 v23, v25, v15 :: v_dual_fmaak_f32 v16, v4, v16, 0xc0c00000
	s_delay_alu instid0(VALU_DEP_3) | instskip(NEXT) | instid1(VALU_DEP_2)
	v_fmac_f32_e32 v21, v20, v15
	v_fmaak_f32 v4, v4, v16, 0x40400000
	s_waitcnt vmcnt(2)
	s_delay_alu instid0(VALU_DEP_1) | instskip(NEXT) | instid1(VALU_DEP_3)
	v_dual_mul_f32 v18, v6, v18 :: v_dual_fmac_f32 v23, v11, v4
	v_fmac_f32_e32 v21, v22, v4
	s_delay_alu instid0(VALU_DEP_2) | instskip(NEXT) | instid1(VALU_DEP_2)
	v_fma_f32 v6, v6, v18, 1.0
	v_dual_mul_f32 v5, v5, v21 :: v_dual_fmaak_f32 v30, s1, v12, 0xc0100000
	v_dual_fmac_f32 v17, v8, v13 :: v_dual_sub_f32 v0, 2.0, v0
	s_delay_alu instid0(VALU_DEP_2) | instskip(NEXT) | instid1(VALU_DEP_3)
	v_fmac_f32_e32 v5, v6, v23
	v_mul_f32_e32 v19, v12, v30
	s_waitcnt vmcnt(1)
	s_delay_alu instid0(VALU_DEP_3) | instskip(SKIP_3) | instid1(VALU_DEP_2)
	v_fmac_f32_e32 v17, v15, v7
	v_mul_f32_e32 v16, v27, v8
	v_fmaak_f32 v31, s0, v0, 0x40700000
	s_waitcnt vmcnt(0)
	v_dual_fmac_f32 v17, v4, v3 :: v_dual_fmac_f32 v16, v14, v28
	s_delay_alu instid0(VALU_DEP_1) | instskip(SKIP_1) | instid1(VALU_DEP_2)
	v_fmac_f32_e32 v16, v15, v9
	v_fma_f32 v9, v12, v19, 1.0
	v_fmac_f32_e32 v16, v4, v10
	s_delay_alu instid0(VALU_DEP_1) | instskip(NEXT) | instid1(VALU_DEP_1)
	v_dual_fmaak_f32 v8, v0, v31, 0xc0c00000 :: v_dual_fmac_f32 v5, v9, v16
	v_fmaak_f32 v6, v0, v8, 0x40400000
	v_lshlrev_b64 v[0:1], 2, v[1:2]
	s_delay_alu instid0(VALU_DEP_2) | instskip(NEXT) | instid1(VALU_DEP_2)
	v_fmac_f32_e32 v5, v6, v17
	v_add_co_u32 v0, vcc_lo, s14, v0
	s_delay_alu instid0(VALU_DEP_3)
	v_add_co_ci_u32_e32 v1, vcc_lo, s15, v1, vcc_lo
	global_store_b32 v[0:1], v5, off
.LBB3_2:
	s_nop 0
	s_sendmsg sendmsg(MSG_DEALLOC_VGPRS)
	s_endpgm
	.section	.rodata,"a",@progbits
	.p2align	6, 0x0
	.amdhsa_kernel _ZL19upscale_f32_bicubicPKfPfiiiiiiiiiifffff
		.amdhsa_group_segment_fixed_size 0
		.amdhsa_private_segment_fixed_size 0
		.amdhsa_kernarg_size 336
		.amdhsa_user_sgpr_count 15
		.amdhsa_user_sgpr_dispatch_ptr 0
		.amdhsa_user_sgpr_queue_ptr 0
		.amdhsa_user_sgpr_kernarg_segment_ptr 1
		.amdhsa_user_sgpr_dispatch_id 0
		.amdhsa_user_sgpr_private_segment_size 0
		.amdhsa_wavefront_size32 1
		.amdhsa_uses_dynamic_stack 0
		.amdhsa_enable_private_segment 0
		.amdhsa_system_sgpr_workgroup_id_x 1
		.amdhsa_system_sgpr_workgroup_id_y 0
		.amdhsa_system_sgpr_workgroup_id_z 0
		.amdhsa_system_sgpr_workgroup_info 0
		.amdhsa_system_vgpr_workitem_id 0
		.amdhsa_next_free_vgpr 33
		.amdhsa_next_free_sgpr 24
		.amdhsa_reserve_vcc 1
		.amdhsa_float_round_mode_32 0
		.amdhsa_float_round_mode_16_64 0
		.amdhsa_float_denorm_mode_32 3
		.amdhsa_float_denorm_mode_16_64 3
		.amdhsa_dx10_clamp 1
		.amdhsa_ieee_mode 1
		.amdhsa_fp16_overflow 0
		.amdhsa_workgroup_processor_mode 1
		.amdhsa_memory_ordered 1
		.amdhsa_forward_progress 0
		.amdhsa_shared_vgpr_count 0
		.amdhsa_exception_fp_ieee_invalid_op 0
		.amdhsa_exception_fp_denorm_src 0
		.amdhsa_exception_fp_ieee_div_zero 0
		.amdhsa_exception_fp_ieee_overflow 0
		.amdhsa_exception_fp_ieee_underflow 0
		.amdhsa_exception_fp_ieee_inexact 0
		.amdhsa_exception_int_div_zero 0
	.end_amdhsa_kernel
	.section	.text._ZL19upscale_f32_bicubicPKfPfiiiiiiiiiifffff,"axG",@progbits,_ZL19upscale_f32_bicubicPKfPfiiiiiiiiiifffff,comdat
.Lfunc_end3:
	.size	_ZL19upscale_f32_bicubicPKfPfiiiiiiiiiifffff, .Lfunc_end3-_ZL19upscale_f32_bicubicPKfPfiiiiiiiiiifffff
                                        ; -- End function
	.section	.AMDGPU.csdata,"",@progbits
; Kernel info:
; codeLenInByte = 2204
; NumSgprs: 26
; NumVgprs: 33
; ScratchSize: 0
; MemoryBound: 0
; FloatMode: 240
; IeeeMode: 1
; LDSByteSize: 0 bytes/workgroup (compile time only)
; SGPRBlocks: 3
; VGPRBlocks: 4
; NumSGPRsForWavesPerEU: 26
; NumVGPRsForWavesPerEU: 33
; Occupancy: 16
; WaveLimiterHint : 0
; COMPUTE_PGM_RSRC2:SCRATCH_EN: 0
; COMPUTE_PGM_RSRC2:USER_SGPR: 15
; COMPUTE_PGM_RSRC2:TRAP_HANDLER: 0
; COMPUTE_PGM_RSRC2:TGID_X_EN: 1
; COMPUTE_PGM_RSRC2:TGID_Y_EN: 0
; COMPUTE_PGM_RSRC2:TGID_Z_EN: 0
; COMPUTE_PGM_RSRC2:TIDIG_COMP_CNT: 0
	.text
	.p2alignl 7, 3214868480
	.fill 96, 4, 3214868480
	.type	__hip_cuid_ba917ad180bc515c,@object ; @__hip_cuid_ba917ad180bc515c
	.section	.bss,"aw",@nobits
	.globl	__hip_cuid_ba917ad180bc515c
__hip_cuid_ba917ad180bc515c:
	.byte	0                               ; 0x0
	.size	__hip_cuid_ba917ad180bc515c, 1

	.ident	"AMD clang version 19.0.0git (https://github.com/RadeonOpenCompute/llvm-project roc-6.4.0 25133 c7fe45cf4b819c5991fe208aaa96edf142730f1d)"
	.section	".note.GNU-stack","",@progbits
	.addrsig
	.addrsig_sym __hip_cuid_ba917ad180bc515c
	.amdgpu_metadata
---
amdhsa.kernels:
  - .args:
      - .address_space:  global
        .offset:         0
        .size:           8
        .value_kind:     global_buffer
      - .address_space:  global
        .offset:         8
        .size:           8
        .value_kind:     global_buffer
      - .offset:         16
        .size:           4
        .value_kind:     by_value
      - .offset:         20
        .size:           4
        .value_kind:     by_value
      - .offset:         24
        .size:           4
        .value_kind:     by_value
      - .offset:         28
        .size:           4
        .value_kind:     by_value
      - .offset:         32
        .size:           4
        .value_kind:     by_value
      - .offset:         36
        .size:           4
        .value_kind:     by_value
      - .offset:         40
        .size:           4
        .value_kind:     by_value
      - .offset:         44
        .size:           4
        .value_kind:     by_value
      - .offset:         48
        .size:           4
        .value_kind:     by_value
      - .offset:         52
        .size:           4
        .value_kind:     by_value
      - .offset:         56
        .size:           4
        .value_kind:     by_value
      - .offset:         60
        .size:           4
        .value_kind:     by_value
      - .offset:         64
        .size:           4
        .value_kind:     hidden_block_count_x
      - .offset:         68
        .size:           4
        .value_kind:     hidden_block_count_y
      - .offset:         72
        .size:           4
        .value_kind:     hidden_block_count_z
      - .offset:         76
        .size:           2
        .value_kind:     hidden_group_size_x
      - .offset:         78
        .size:           2
        .value_kind:     hidden_group_size_y
      - .offset:         80
        .size:           2
        .value_kind:     hidden_group_size_z
      - .offset:         82
        .size:           2
        .value_kind:     hidden_remainder_x
      - .offset:         84
        .size:           2
        .value_kind:     hidden_remainder_y
      - .offset:         86
        .size:           2
        .value_kind:     hidden_remainder_z
      - .offset:         104
        .size:           8
        .value_kind:     hidden_global_offset_x
      - .offset:         112
        .size:           8
        .value_kind:     hidden_global_offset_y
      - .offset:         120
        .size:           8
        .value_kind:     hidden_global_offset_z
      - .offset:         128
        .size:           2
        .value_kind:     hidden_grid_dims
    .group_segment_fixed_size: 0
    .kernarg_segment_align: 8
    .kernarg_segment_size: 320
    .language:       OpenCL C
    .language_version:
      - 2
      - 0
    .max_flat_workgroup_size: 1024
    .name:           _ZL11upscale_f32PKfPfiiiiiiiiffff
    .private_segment_fixed_size: 0
    .sgpr_count:     21
    .sgpr_spill_count: 0
    .symbol:         _ZL11upscale_f32PKfPfiiiiiiiiffff.kd
    .uniform_work_group_size: 1
    .uses_dynamic_stack: false
    .vgpr_count:     25
    .vgpr_spill_count: 0
    .wavefront_size: 32
    .workgroup_processor_mode: 1
  - .args:
      - .address_space:  global
        .offset:         0
        .size:           8
        .value_kind:     global_buffer
      - .address_space:  global
        .offset:         8
        .size:           8
        .value_kind:     global_buffer
      - .offset:         16
        .size:           4
        .value_kind:     by_value
      - .offset:         20
        .size:           4
        .value_kind:     by_value
      - .offset:         24
        .size:           4
        .value_kind:     by_value
      - .offset:         28
        .size:           4
        .value_kind:     by_value
      - .offset:         32
        .size:           4
        .value_kind:     by_value
      - .offset:         36
        .size:           4
        .value_kind:     by_value
      - .offset:         40
        .size:           4
        .value_kind:     by_value
      - .offset:         44
        .size:           4
        .value_kind:     by_value
      - .offset:         48
        .size:           4
        .value_kind:     by_value
      - .offset:         52
        .size:           4
        .value_kind:     by_value
      - .offset:         56
        .size:           4
        .value_kind:     by_value
      - .offset:         60
        .size:           4
        .value_kind:     by_value
      - .offset:         64
        .size:           4
        .value_kind:     by_value
      - .offset:         68
        .size:           4
        .value_kind:     by_value
      - .offset:         72
        .size:           4
        .value_kind:     by_value
      - .offset:         80
        .size:           4
        .value_kind:     hidden_block_count_x
      - .offset:         84
        .size:           4
        .value_kind:     hidden_block_count_y
      - .offset:         88
        .size:           4
        .value_kind:     hidden_block_count_z
      - .offset:         92
        .size:           2
        .value_kind:     hidden_group_size_x
      - .offset:         94
        .size:           2
        .value_kind:     hidden_group_size_y
      - .offset:         96
        .size:           2
        .value_kind:     hidden_group_size_z
      - .offset:         98
        .size:           2
        .value_kind:     hidden_remainder_x
      - .offset:         100
        .size:           2
        .value_kind:     hidden_remainder_y
      - .offset:         102
        .size:           2
        .value_kind:     hidden_remainder_z
      - .offset:         120
        .size:           8
        .value_kind:     hidden_global_offset_x
      - .offset:         128
        .size:           8
        .value_kind:     hidden_global_offset_y
      - .offset:         136
        .size:           8
        .value_kind:     hidden_global_offset_z
      - .offset:         144
        .size:           2
        .value_kind:     hidden_grid_dims
    .group_segment_fixed_size: 0
    .kernarg_segment_align: 8
    .kernarg_segment_size: 336
    .language:       OpenCL C
    .language_version:
      - 2
      - 0
    .max_flat_workgroup_size: 1024
    .name:           _ZL20upscale_f32_bilinearPKfPfiiiiiiiiiifffff
    .private_segment_fixed_size: 0
    .sgpr_count:     26
    .sgpr_spill_count: 0
    .symbol:         _ZL20upscale_f32_bilinearPKfPfiiiiiiiiiifffff.kd
    .uniform_work_group_size: 1
    .uses_dynamic_stack: false
    .vgpr_count:     25
    .vgpr_spill_count: 0
    .wavefront_size: 32
    .workgroup_processor_mode: 1
  - .args:
      - .address_space:  global
        .offset:         0
        .size:           8
        .value_kind:     global_buffer
      - .address_space:  global
        .offset:         8
        .size:           8
        .value_kind:     global_buffer
      - .offset:         16
        .size:           4
        .value_kind:     by_value
      - .offset:         20
        .size:           4
        .value_kind:     by_value
      - .offset:         24
        .size:           4
        .value_kind:     by_value
      - .offset:         28
        .size:           4
        .value_kind:     by_value
      - .offset:         32
        .size:           4
        .value_kind:     by_value
      - .offset:         36
        .size:           4
        .value_kind:     by_value
      - .offset:         40
        .size:           4
        .value_kind:     by_value
      - .offset:         44
        .size:           4
        .value_kind:     by_value
      - .offset:         48
        .size:           4
        .value_kind:     by_value
      - .offset:         52
        .size:           4
        .value_kind:     by_value
      - .offset:         56
        .size:           4
        .value_kind:     by_value
      - .offset:         60
        .size:           4
        .value_kind:     by_value
      - .offset:         64
        .size:           4
        .value_kind:     by_value
      - .offset:         68
        .size:           4
        .value_kind:     by_value
      - .offset:         72
        .size:           4
        .value_kind:     by_value
      - .offset:         80
        .size:           4
        .value_kind:     hidden_block_count_x
      - .offset:         84
        .size:           4
        .value_kind:     hidden_block_count_y
      - .offset:         88
        .size:           4
        .value_kind:     hidden_block_count_z
      - .offset:         92
        .size:           2
        .value_kind:     hidden_group_size_x
      - .offset:         94
        .size:           2
        .value_kind:     hidden_group_size_y
      - .offset:         96
        .size:           2
        .value_kind:     hidden_group_size_z
      - .offset:         98
        .size:           2
        .value_kind:     hidden_remainder_x
      - .offset:         100
        .size:           2
        .value_kind:     hidden_remainder_y
      - .offset:         102
        .size:           2
        .value_kind:     hidden_remainder_z
      - .offset:         120
        .size:           8
        .value_kind:     hidden_global_offset_x
      - .offset:         128
        .size:           8
        .value_kind:     hidden_global_offset_y
      - .offset:         136
        .size:           8
        .value_kind:     hidden_global_offset_z
      - .offset:         144
        .size:           2
        .value_kind:     hidden_grid_dims
    .group_segment_fixed_size: 0
    .kernarg_segment_align: 8
    .kernarg_segment_size: 336
    .language:       OpenCL C
    .language_version:
      - 2
      - 0
    .max_flat_workgroup_size: 1024
    .name:           _ZL30upscale_f32_bilinear_antialiasPKfPfiiiiiiiiiifffff
    .private_segment_fixed_size: 0
    .sgpr_count:     28
    .sgpr_spill_count: 0
    .symbol:         _ZL30upscale_f32_bilinear_antialiasPKfPfiiiiiiiiiifffff.kd
    .uniform_work_group_size: 1
    .uses_dynamic_stack: false
    .vgpr_count:     35
    .vgpr_spill_count: 0
    .wavefront_size: 32
    .workgroup_processor_mode: 1
  - .args:
      - .address_space:  global
        .offset:         0
        .size:           8
        .value_kind:     global_buffer
      - .address_space:  global
        .offset:         8
        .size:           8
        .value_kind:     global_buffer
      - .offset:         16
        .size:           4
        .value_kind:     by_value
      - .offset:         20
        .size:           4
        .value_kind:     by_value
      - .offset:         24
        .size:           4
        .value_kind:     by_value
      - .offset:         28
        .size:           4
        .value_kind:     by_value
      - .offset:         32
        .size:           4
        .value_kind:     by_value
      - .offset:         36
        .size:           4
        .value_kind:     by_value
      - .offset:         40
        .size:           4
        .value_kind:     by_value
      - .offset:         44
        .size:           4
        .value_kind:     by_value
      - .offset:         48
        .size:           4
        .value_kind:     by_value
      - .offset:         52
        .size:           4
        .value_kind:     by_value
      - .offset:         56
        .size:           4
        .value_kind:     by_value
      - .offset:         60
        .size:           4
        .value_kind:     by_value
      - .offset:         64
        .size:           4
        .value_kind:     by_value
      - .offset:         68
        .size:           4
        .value_kind:     by_value
      - .offset:         72
        .size:           4
        .value_kind:     by_value
      - .offset:         80
        .size:           4
        .value_kind:     hidden_block_count_x
      - .offset:         84
        .size:           4
        .value_kind:     hidden_block_count_y
      - .offset:         88
        .size:           4
        .value_kind:     hidden_block_count_z
      - .offset:         92
        .size:           2
        .value_kind:     hidden_group_size_x
      - .offset:         94
        .size:           2
        .value_kind:     hidden_group_size_y
      - .offset:         96
        .size:           2
        .value_kind:     hidden_group_size_z
      - .offset:         98
        .size:           2
        .value_kind:     hidden_remainder_x
      - .offset:         100
        .size:           2
        .value_kind:     hidden_remainder_y
      - .offset:         102
        .size:           2
        .value_kind:     hidden_remainder_z
      - .offset:         120
        .size:           8
        .value_kind:     hidden_global_offset_x
      - .offset:         128
        .size:           8
        .value_kind:     hidden_global_offset_y
      - .offset:         136
        .size:           8
        .value_kind:     hidden_global_offset_z
      - .offset:         144
        .size:           2
        .value_kind:     hidden_grid_dims
    .group_segment_fixed_size: 0
    .kernarg_segment_align: 8
    .kernarg_segment_size: 336
    .language:       OpenCL C
    .language_version:
      - 2
      - 0
    .max_flat_workgroup_size: 1024
    .name:           _ZL19upscale_f32_bicubicPKfPfiiiiiiiiiifffff
    .private_segment_fixed_size: 0
    .sgpr_count:     26
    .sgpr_spill_count: 0
    .symbol:         _ZL19upscale_f32_bicubicPKfPfiiiiiiiiiifffff.kd
    .uniform_work_group_size: 1
    .uses_dynamic_stack: false
    .vgpr_count:     33
    .vgpr_spill_count: 0
    .wavefront_size: 32
    .workgroup_processor_mode: 1
amdhsa.target:   amdgcn-amd-amdhsa--gfx1100
amdhsa.version:
  - 1
  - 2
...

	.end_amdgpu_metadata
